;; amdgpu-corpus repo=ROCm/aiter kind=harvested arch=n/a opt=n/a

/root/src/amdgpu-assembly/repos/ROCm__aiter/hsa/gfx950/mla/mla_a8w8_qh32_qseqlen4_gqaratio8_ps.co:	file format elf64-amdgpu

Disassembly of section .text:

0000000000002300 <_ZN5aiter35mla_a8w8_qh32_qseqlen4_gqaratio8_psE>:
	s_and_b32 s1, s1, 0xffff                                   // 000000002300: 8601FF01 0000FFFF
	s_load_dwordx2 s[28:29], s[0:1], 0xe0                      // 000000002308: C0060700 000000E0
	v_lshrrev_b32_e32 v1, 10, v0                               // 000000002310: 2002008A
	v_lshrrev_b32_e32 v2, 10, v1                               // 000000002314: 2004028A
	v_and_b32_e32 v2, 0x3ff, v2                                // 000000002318: 260404FF 000003FF
	v_and_b32_e32 v1, 0x3ff, v1                                // 000000002320: 260202FF 000003FF
	v_and_b32_e32 v0, 0x3ff, v0                                // 000000002328: 260000FF 000003FF
	v_lshrrev_b32_e32 v3, 6, v0                                // 000000002330: 20060086
	v_and_b32_e32 v0, 63, v0                                   // 000000002334: 260000BF
	s_mov_b32 s2, s2                                           // 000000002338: BE820002
	s_mov_b32 s3, s3                                           // 00000000233C: BE830003
	s_mov_b32 s4, s4                                           // 000000002340: BE840004
	v_readfirstlane_b32 s7, v3                                 // 000000002344: 7E0E0503
	s_waitcnt lgkmcnt(0)                                       // 000000002348: BF8CC07F
	s_and_b32 s29, s29, 0xffff                                 // 00000000234C: 861DFF1D 0000FFFF
	s_load_dwordx2 s[32:33], s[28:29], 0x0                     // 000000002354: C006080E 00000000
	s_load_dwordx2 s[30:31], s[28:29], 0x8                     // 00000000235C: C006078E 00000008
	s_waitcnt lgkmcnt(0)                                       // 000000002364: BF8CC07F
	s_mul_i32 s56, s2, 4                                       // 000000002368: 92388402
	s_and_b32 s33, s33, 0xffff                                 // 00000000236C: 8621FF21 0000FFFF
	s_add_u32 s32, s56, s32                                    // 000000002374: 80202038
	s_addc_u32 s33, 0, s33                                     // 000000002378: 82212180
	s_load_dword s85, s[32:33], 0x0                            // 00000000237C: C0021550 00000000
	s_load_dword s86, s[32:33], 0x4                            // 000000002384: C0021590 00000004
	s_and_b32 s31, s31, 0xffff                                 // 00000000238C: 861FFF1F 0000FFFF
	s_waitcnt lgkmcnt(0)                                       // 000000002394: BF8CC07F
	s_cmp_eq_i32 s85, s86                                      // 000000002398: BF005655
	s_cbranch_scc1 label_940C                                  // 00000000239C: BF8524DB
	s_mul_i32 s56, s85, 32                                     // 0000000023A0: 9238A055

00000000000023a4 <label_00A4>:
	s_waitcnt vmcnt(0) expcnt(0) lgkmcnt(0)                    // 0000000023A4: BF8C0000
	s_barrier                                                  // 0000000023A8: BF8A0000
	s_add_u32 s30, s56, s30                                    // 0000000023AC: 801E1E38
	s_addc_u32 s31, 0, s31                                     // 0000000023B0: 821F1F80
	s_load_dword s87, s[30:31], 0x4                            // 0000000023B4: C00215CF 00000004
	s_load_dword s79, s[30:31], 0x8                            // 0000000023BC: C00213CF 00000008
	s_load_dword s78, s[30:31], 0xc                            // 0000000023C4: C002138F 0000000C
	s_load_dword s47, s[30:31], 0x10                           // 0000000023CC: C0020BCF 00000010
	s_load_dword s46, s[30:31], 0x14                           // 0000000023D4: C0020B8F 00000014
	s_load_dword s77, s[30:31], 0x18                           // 0000000023DC: C002134F 00000018
	s_load_dwordx2 s[8:9], s[0:1], 0x0                         // 0000000023E4: C0060200 00000000
	s_load_dwordx2 s[12:13], s[0:1], 0x10                      // 0000000023EC: C0060300 00000010
	s_load_dwordx2 s[16:17], s[0:1], 0x20                      // 0000000023F4: C0060400 00000020
	s_load_dwordx2 s[20:21], s[0:1], 0x30                      // 0000000023FC: C0060500 00000030
	s_load_dwordx2 s[24:25], s[0:1], 0x50                      // 000000002404: C0060600 00000050
	s_load_dword s64, s[0:1], 0x70                             // 00000000240C: C0021000 00000070
	s_load_dword s65, s[0:1], 0x80                             // 000000002414: C0021040 00000080
	s_load_dword s67, s[0:1], 0x90                             // 00000000241C: C00210C0 00000090
	s_load_dword s66, s[0:1], 0xa0                             // 000000002424: C0021080 000000A0
	s_load_dword s68, s[0:1], 0xb0                             // 00000000242C: C0021100 000000B0
	s_load_dword s69, s[0:1], 0xc0                             // 000000002434: C0021140 000000C0
	s_load_dwordx2 s[88:89], s[0:1], 0xf0                      // 00000000243C: C0061600 000000F0
	s_load_dwordx2 s[40:41], s[0:1], 0x100                     // 000000002444: C0060A00 00000100
	s_load_dwordx2 s[42:43], s[0:1], 0x110                     // 00000000244C: C0060A80 00000110
	s_waitcnt lgkmcnt(0)                                       // 000000002454: BF8CC07F
	s_sub_u32 s81, s78, s79                                    // 000000002458: 80D14F4E
	s_mul_i32 s74, 0x240, s65                                  // 00000000245C: 924A41FF 00000240
	s_mul_i32 s56, 4, s65                                      // 000000002464: 92384184
	s_mov_b32 s10, s75                                         // 000000002468: BE8A004B
	s_mov_b32 s18, s74                                         // 00000000246C: BE92004A
	s_mov_b32 s14, s56                                         // 000000002470: BE8E0038
	s_mov_b32 s22, -16                                         // 000000002474: BE9600D0
	s_mov_b32 s26, -16                                         // 000000002478: BE9A00D0
	s_mov_b32 s11, 0x20000                                     // 00000000247C: BE8B00FF 00020000
	s_mov_b32 s91, 0x20000                                     // 000000002484: BEDB00FF 00020000
	s_mov_b32 s19, 0x20000                                     // 00000000248C: BE9300FF 00020000
	s_mov_b32 s15, 0x20000                                     // 000000002494: BE8F00FF 00020000
	s_mov_b32 s23, 0x20000                                     // 00000000249C: BE9700FF 00020000
	s_mov_b32 s27, 0x20000                                     // 0000000024A4: BE9B00FF 00020000
	s_and_b32 s9, s9, 0xffff                                   // 0000000024AC: 8609FF09 0000FFFF
	s_and_b32 s89, s89, 0xffff                                 // 0000000024B4: 8659FF59 0000FFFF
	s_and_b32 s17, s17, 0xffff                                 // 0000000024BC: 8611FF11 0000FFFF
	s_and_b32 s13, s13, 0xffff                                 // 0000000024C4: 860DFF0D 0000FFFF
	s_and_b32 s21, s21, 0xffff                                 // 0000000024CC: 8615FF15 0000FFFF
	s_and_b32 s25, s25, 0xffff                                 // 0000000024D4: 8619FF19 0000FFFF
	s_and_b32 s41, s41, 0xffff                                 // 0000000024DC: 8629FF29 0000FFFF
	s_and_b32 s43, s43, 0xffff                                 // 0000000024E4: 862BFF2B 0000FFFF
	s_or_b32 s9, s9, 0x40000                                   // 0000000024EC: 8709FF09 00040000
	s_or_b32 s89, s89, 0x40000                                 // 0000000024F4: 8759FF59 00040000
	s_or_b32 s17, s17, 0x40000                                 // 0000000024FC: 8711FF11 00040000
	s_or_b32 s13, s13, 0x40000                                 // 000000002504: 870DFF0D 00040000
	s_or_b32 s21, s21, 0x40000                                 // 00000000250C: 8715FF15 00040000
	s_or_b32 s25, s25, 0x40000                                 // 000000002514: 8719FF19 00040000
	s_mov_b32 s67, 1                                           // 00000000251C: BEC30081
	s_mov_b32 s80, 0                                           // 000000002520: BED00080
	s_waitcnt lgkmcnt(0)                                       // 000000002524: BF8CC07F
	s_load_dword s60, s[40:41], 0x0                            // 000000002528: C0020F14 00000000
	s_load_dword s61, s[42:43], 0x0                            // 000000002530: C0020F55 00000000
	s_mov_b32 s69, 0                                           // 000000002538: BEC50080
	s_lshr_b32 s44, 64, s69                                    // 00000000253C: 8F2C45C0
	s_mul_i32 s73, s44, 4                                      // 000000002540: 9249842C
	s_mul_i32 s73, s73, s67                                    // 000000002544: 92494349
	s_mul_i32 s45, s4, s44                                     // 000000002548: 922D2C04
	s_sub_u32 s50, s46, s47                                    // 00000000254C: 80B22F2E
	s_sub_i32 s82, s50, s81                                    // 000000002550: 81D25132
	s_mov_b32 s56, s77                                         // 000000002554: BEB8004D
	s_add_u32 s82, s56, s82                                    // 000000002558: 80525238
	s_mov_b32 s84, 64                                          // 00000000255C: BED400C0
	s_cmp_le_u32 s50, s45                                      // 000000002560: BF0B2D32
	s_cbranch_scc1 label_940C                                  // 000000002564: BF852469
	s_mul_i32 s56, s50, 4                                      // 000000002568: 92388432
	s_mov_b32 s26, s56                                         // 00000000256C: BE9A0038
	s_mul_i32 s56, s47, 4                                      // 000000002570: 9238842F
	s_add_u32 s24, s56, s24                                    // 000000002574: 80181838
	s_addc_u32 s25, 0, s25                                     // 000000002578: 82191980
	s_mov_b32 s70, 0                                           // 00000000257C: BEC60080
	s_sub_u32 s71, s50, s45                                    // 000000002580: 80C72D32
	s_mul_i32 s37, s67, s44                                    // 000000002584: 92252C43
	s_mov_b32 s36, s71                                         // 000000002588: BEA40047
	v_cvt_f32_u32_e32 v35, s37                                 // 00000000258C: 7E460C25
	s_sub_i32 s56, 0, s37                                      // 000000002590: 81B82580
	v_rcp_iflag_f32_e32 v35, v35                               // 000000002594: 7E464723
	s_nop 0                                                    // 000000002598: BF800000
	v_mul_f32_e32 v35, 0x4f7ffffe, v35                         // 00000000259C: 0A4646FF 4F7FFFFE
	v_cvt_u32_f32_e32 v35, v35                                 // 0000000025A4: 7E460F23
	v_mul_lo_u32 v36, s56, v35                                 // 0000000025A8: D2850024 00024638
	v_mul_hi_u32 v36, v35, v36                                 // 0000000025B0: D2860024 00024923
	v_add_u32_e32 v35, v35, v36                                // 0000000025B8: 68464923
	v_mul_hi_u32 v35, s36, v35                                 // 0000000025BC: D2860023 00024624
	v_mul_lo_u32 v36, v35, s37                                 // 0000000025C4: D2850024 00004B23
	v_sub_u32_e32 v38, s36, v36                                // 0000000025CC: 6A4C4824
	v_add_u32_e32 v37, 1, v35                                  // 0000000025D0: 684A4681
	v_cmp_le_u32_e32 vcc, s37, v38                             // 0000000025D4: 7D964C25
	v_subrev_u32_e32 v36, s37, v38                             // 0000000025D8: 6C484C25
	s_nop 0                                                    // 0000000025DC: BF800000
	v_cndmask_b32_e32 v35, v35, v37, vcc                       // 0000000025E0: 00464B23
	v_cndmask_b32_e32 v38, v38, v36, vcc                       // 0000000025E4: 004C4926
	v_add_u32_e32 v36, 1, v35                                  // 0000000025E8: 68484681
	v_cmp_le_u32_e32 vcc, s37, v38                             // 0000000025EC: 7D964C25
	s_nop 1                                                    // 0000000025F0: BF800001
	v_cndmask_b32_e32 v38, v35, v36, vcc                       // 0000000025F4: 004C4923
	s_nop 3                                                    // 0000000025F8: BF800003
	v_readfirstlane_b32 s38, v38                               // 0000000025FC: 7E4C0526
	s_nop 3                                                    // 000000002600: BF800003
	s_mov_b32 s71, s38                                         // 000000002604: BEC70026
	s_mul_i32 s56, s71, s37                                    // 000000002608: 92382547
	s_sub_u32 s56, s36, s56                                    // 00000000260C: 80B83824
	s_mov_b32 s57, 0                                           // 000000002610: BEB90080
	s_cmp_lt_u32 s56, s44                                      // 000000002614: BF0A2C38
	s_cselect_b32 s57, s57, 1                                  // 000000002618: 85398139
	s_add_u32 s71, s57, s71                                    // 00000000261C: 80474739
	s_cmpk_eq_u32 s57, 0x1                                     // 000000002620: B4390001
	s_cselect_b32 s49, 0, s56                                  // 000000002624: 85313880
	s_mov_b32 s48, s49                                         // 000000002628: BEB00031
	v_lshrrev_b32_e32 v35, 2, v0                               // 00000000262C: 20460082
	s_mul_i32 s56, s7, 16                                      // 000000002630: 92389007
	v_add_u32_e64 v34, v35, s56                                // 000000002634: D1340022 00007123
	v_add_u32_e32 v34, s45, v34                                // 00000000263C: 6844442D
	v_lshlrev_b32_e32 v34, 2, v34                              // 000000002640: 24444482
	buffer_load_dword v30, v34, s[24:27], 0 offen              // 000000002644: E0501000 80061E22
	v_add_u32_e32 v34, s73, v34                                // 00000000264C: 68444449
	buffer_load_dword v31, v34, s[24:27], 0 offen              // 000000002650: E0501000 80061F22
	v_add_u32_e32 v34, s73, v34                                // 000000002658: 68444449
	s_mul_i32 s56, 0x240, 8                                    // 00000000265C: 923888FF 00000240
	s_mul_i32 s56, s79, s56                                    // 000000002664: 9238384F
	s_add_u32 s16, s56, s16                                    // 000000002668: 80101038
	s_addc_u32 s17, 0, s17                                     // 00000000266C: 82111180
	s_mul_i32 s56, s7, 0x400                                   // 000000002670: 9238FF07 00000400
	s_add_u32 m0, 0x2000, s56                                  // 000000002678: 807C38FF 00002000
	v_and_b32_e32 v35, 3, v0                                   // 000000002680: 26460083
	v_mov_b32_e32 v36, 0                                       // 000000002684: 7E480280
	s_mov_b32 s56, 0                                           // 000000002688: BEB80080
	s_mov_b32 s57, -1                                          // 00000000268C: BEB900C1
	v_cndmask_b32_e64 v37, v36, v35, s[56:57]                  // 000000002690: D1000025 00E24724
	s_nop 2                                                    // 000000002698: BF800002
	v_mov_b32_dpp v37, v37 quad_perm:[2,3,0,1] row_mask:0xf bank_mask:0xf// 00000000269C: 7E4A02FA FF004E25
	v_cndmask_b32_e64 v38, v35, v37, s[56:57]                  // 0000000026A4: D1000026 00E24B23
	v_lshlrev_b32_e32 v38, 4, v38                              // 0000000026AC: 244C4C84
	v_mov_b32_e32 v1, v38                                      // 0000000026B0: 7E020326
	v_lshrrev_b32_e32 v35, 2, v0                               // 0000000026B4: 20460082
	s_mov_b32 s56, 0x240                                       // 0000000026B8: BEB800FF 00000240
	v_mul_i32_i24_e64 v35, v35, s56                            // 0000000026C0: D1060023 00007123
	s_mul_i32 s56, s7, 64                                      // 0000000026C8: 9238C007
	v_add_u32_e32 v36, v35, v38                                // 0000000026CC: 68484D23
	v_add_u32_e64 v36, v36, s56                                // 0000000026D0: D1340024 00007124
	buffer_load_dwordx4 v36, s[16:19], 0 offen lds             // 0000000026D8: E05D1000 80040024
	s_add_u32 m0, m0, 0x1000                                   // 0000000026E0: 807CFF7C 00001000
	v_add_u32_e32 v36, 0x100, v36                              // 0000000026E8: 684848FF 00000100
	buffer_load_dwordx4 v36, s[16:19], 0 offen lds             // 0000000026F0: E05D1000 80040024
	s_add_u32 m0, m0, 0x1000                                   // 0000000026F8: 807CFF7C 00001000
	v_add_u32_e32 v36, 0x100, v36                              // 000000002700: 684848FF 00000100
	buffer_load_dwordx4 v36, s[16:19], 0 offen lds             // 000000002708: E05D1000 80040024
	s_add_u32 m0, m0, 0x1000                                   // 000000002710: 807CFF7C 00001000
	v_add_u32_e32 v36, 0x100, v36                              // 000000002718: 684848FF 00000100
	v_add_u32_e32 v36, 0x2100, v36                             // 000000002720: 684848FF 00002100
	buffer_load_dwordx4 v36, s[16:19], 0 offen lds             // 000000002728: E05D1000 80040024
	s_add_u32 m0, m0, 0x1000                                   // 000000002730: 807CFF7C 00001000
	v_add_u32_e32 v36, 0x100, v36                              // 000000002738: 684848FF 00000100
	buffer_load_dwordx4 v36, s[16:19], 0 offen lds             // 000000002740: E05D1000 80040024
	s_add_u32 m0, m0, 0x1000                                   // 000000002748: 807CFF7C 00001000
	v_add_u32_e32 v36, 0x100, v36                              // 000000002750: 684848FF 00000100
	;; [unrolled: 3-line block ×3, first 2 shown]
	v_add_u32_e32 v36, 0x2100, v36                             // 000000002770: 684848FF 00002100
	buffer_load_dwordx4 v36, s[16:19], 0 offen lds             // 000000002778: E05D1000 80040024
	s_add_u32 m0, m0, 0x1000                                   // 000000002780: 807CFF7C 00001000
	v_add_u32_e32 v36, 0x100, v36                              // 000000002788: 684848FF 00000100
	buffer_load_dwordx4 v36, s[16:19], 0 offen lds             // 000000002790: E05D1000 80040024
	s_add_u32 m0, m0, 0x1000                                   // 000000002798: 807CFF7C 00001000
	v_add_u32_e32 v36, 0x100, v36                              // 0000000027A0: 684848FF 00000100
	buffer_load_dwordx4 v36, s[16:19], 0 offen lds             // 0000000027A8: E05D1000 80040024
	s_add_u32 m0, m0, 0x1000                                   // 0000000027B0: 807CFF7C 00001000
	v_add_u32_e32 v36, 0x100, v36                              // 0000000027B8: 684848FF 00000100
	v_add_u32_e32 v36, 0x2100, v36                             // 0000000027C0: 684848FF 00002100
	buffer_load_dwordx4 v36, s[16:19], 0 offen lds             // 0000000027C8: E05D1000 80040024
	s_add_u32 m0, m0, 0x1000                                   // 0000000027D0: 807CFF7C 00001000
	v_add_u32_e32 v36, 0x100, v36                              // 0000000027D8: 684848FF 00000100
	buffer_load_dwordx4 v36, s[16:19], 0 offen lds             // 0000000027E0: E05D1000 80040024
	s_add_u32 m0, m0, 0x1000                                   // 0000000027E8: 807CFF7C 00001000
	v_add_u32_e32 v36, 0x100, v36                              // 0000000027F0: 684848FF 00000100
	buffer_load_dwordx4 v36, s[16:19], 0 offen lds             // 0000000027F8: E05D1000 80040024
	s_add_u32 m0, m0, 0x1000                                   // 000000002800: 807CFF7C 00001000
	v_add_u32_e32 v36, 0x100, v36                              // 000000002808: 684848FF 00000100
	v_add_u32_e32 v36, 0x2100, v36                             // 000000002810: 684848FF 00002100
	s_mov_b32 s52, 0x7060302                                   // 000000002818: BEB400FF 07060302
	s_mov_b32 s53, 0x5040100                                   // 000000002820: BEB500FF 05040100
	s_mul_i32 s51, s7, 4                                       // 000000002828: 92338407
	s_mov_b32 s6, 0x3fb8aa3b                                   // 00000000282C: BE8600FF 3FB8AA3B
	v_mov_b32_e32 v36, s6                                      // 000000002834: 7E480206
	v_mov_b32_e32 v35, s64                                     // 000000002838: 7E460240
	v_mul_f32_e32 v35, s6, v35                                 // 00000000283C: 0A464606
	v_rcp_f32_e32 v36, v36                                     // 000000002840: 7E484524
	v_mov_b32_e32 v2, 0xff800000                               // 000000002844: 7E0402FF FF800000
	v_mov_b32_e32 v21, 0                                       // 00000000284C: 7E2A0280
	v_mov_b32_e32 v4, 0                                        // 000000002850: 7E080280
	v_readfirstlane_b32 s5, v35                                // 000000002854: 7E0A0523
	v_readfirstlane_b32 s63, v36                               // 000000002858: 7E7E0524
	s_waitcnt lgkmcnt(0)                                       // 00000000285C: BF8CC07F
	v_mov_b32_e32 v35, s60                                     // 000000002860: 7E46023C
	v_mul_f32_e32 v35, s61, v35                                // 000000002864: 0A46463D
	v_mul_f32_e32 v36, s5, v35                                 // 000000002868: 0A484605
	v_mul_f32_e32 v38, s64, v35                                // 00000000286C: 0A4C4640
	v_readfirstlane_b32 s5, v36                                // 000000002870: 7E0A0524
	v_readfirstlane_b32 s64, v38                               // 000000002874: 7E800526
	v_and_b32_e32 v35, 15, v0                                  // 000000002878: 2646008F
	v_lshlrev_b32_e32 v35, 4, v35                              // 00000000287C: 24464684
	v_and_b32_e32 v36, 31, v0                                  // 000000002880: 2648009F
	v_lshrrev_b32_e32 v36, 4, v36                              // 000000002884: 20484884
	s_mov_b32 s56, 0xc00                                       // 000000002888: BEB800FF 00000C00
	v_mul_i32_i24_e32 v36, s56, v36                            // 000000002890: 0C484838
	v_add_u32_e32 v222, v35, v36                               // 000000002894: 69BC4923
	v_mov_b32_e32 v223, v222                                   // 000000002898: 7FBE03DE
	v_and_b32_e32 v35, 15, v0                                  // 00000000289C: 2646008F
	v_lshrrev_b32_e32 v35, 3, v35                              // 0000000028A0: 20464683
	v_lshlrev_b32_e32 v35, 3, v35                              // 0000000028A4: 24464683
	v_lshrrev_b32_e32 v36, 5, v0                               // 0000000028A8: 20480085
	v_lshlrev_b32_e32 v36, 2, v36                              // 0000000028AC: 24484882
	v_add_u32_e32 v222, v222, v35                              // 0000000028B0: 69BC47DE
	v_add_u32_e32 v222, v222, v36                              // 0000000028B4: 69BC49DE
	v_and_b32_e32 v35, 15, v0                                  // 0000000028B8: 2646008F
	v_lshrrev_b32_e32 v35, 3, v35                              // 0000000028BC: 20464683
	s_mov_b32 s56, 1                                           // 0000000028C0: BEB80081
	v_mov_b32_e32 v36, s56                                     // 0000000028C4: 7E480238
	v_xor_b32_e32 v35, v36, v35                                // 0000000028C8: 2A464724
	v_lshlrev_b32_e32 v35, 3, v35                              // 0000000028CC: 24464683
	v_lshrrev_b32_e32 v36, 5, v0                               // 0000000028D0: 20480085
	v_lshlrev_b32_e32 v36, 2, v36                              // 0000000028D4: 24484882
	v_add_u32_e32 v223, v223, v35                              // 0000000028D8: 69BE47DF
	v_add_u32_e32 v223, v223, v36                              // 0000000028DC: 69BE49DF
	s_mov_b32 s56, 0                                           // 0000000028E0: BEB80080
	v_lshlrev_b32_e32 v222, 2, v222                            // 0000000028E4: 25BDBC82
	v_lshlrev_b32_e32 v223, 2, v223                            // 0000000028E8: 25BFBE82
	s_lshr_b32 s57, s7, 1                                      // 0000000028EC: 8F398107
	s_mul_i32 s56, s57, 0x6000                                 // 0000000028F0: 9238FF39 00006000
	v_add_u32_e32 v222, s56, v222                              // 0000000028F8: 69BDBC38
	v_add_u32_e32 v223, s56, v223                              // 0000000028FC: 69BFBE38
	s_waitcnt vmcnt(0)                                         // 000000002900: BF8C0F70
	s_barrier                                                  // 000000002904: BF8A0000
	ds_read_b128 a[0:3], v222 offset:8192                      // 000000002908: DBFE2000 000000DE
	ds_read_b128 a[8:11], v222 offset:9216                     // 000000002910: DBFE2400 080000DE
	ds_read_b128 a[16:19], v222 offset:10240                   // 000000002918: DBFE2800 100000DE
	ds_read_b128 a[24:27], v222 offset:11264                   // 000000002920: DBFE2C00 180000DE
	ds_read_b128 a[32:35], v222 offset:12288                   // 000000002928: DBFE3000 200000DE
	ds_read_b128 a[40:43], v222 offset:13312                   // 000000002930: DBFE3400 280000DE
	ds_read_b128 a[48:51], v222 offset:14336                   // 000000002938: DBFE3800 300000DE
	ds_read_b128 a[56:59], v222 offset:15360                   // 000000002940: DBFE3C00 380000DE
	ds_read_b128 a[64:67], v222 offset:16384                   // 000000002948: DBFE4000 400000DE
	ds_read_b128 a[4:7], v223 offset:8192                      // 000000002950: DBFE2000 040000DF
	ds_read_b128 a[12:15], v223 offset:9216                    // 000000002958: DBFE2400 0C0000DF
	ds_read_b128 a[20:23], v223 offset:10240                   // 000000002960: DBFE2800 140000DF
	ds_read_b128 a[28:31], v223 offset:11264                   // 000000002968: DBFE2C00 1C0000DF
	ds_read_b128 a[36:39], v223 offset:12288                   // 000000002970: DBFE3000 240000DF
	ds_read_b128 a[44:47], v223 offset:13312                   // 000000002978: DBFE3400 2C0000DF
	ds_read_b128 a[52:55], v223 offset:14336                   // 000000002980: DBFE3800 340000DF
	ds_read_b128 a[60:63], v223 offset:15360                   // 000000002988: DBFE3C00 3C0000DF
	ds_read_b128 a[68:71], v223 offset:16384                   // 000000002990: DBFE4000 440000DF
	v_lshlrev_b32_e32 v35, 2, v0                               // 000000002998: 24460082
	s_mov_b32 s56, 0x200                                       // 00000000299C: BEB800FF 00000200
	s_lshr_b32 s57, s7, 1                                      // 0000000029A4: 8F398107
	s_mul_i32 s56, s57, s56                                    // 0000000029A8: 92383839
	v_add_u32_e32 v40, s56, v35                                // 0000000029AC: 68504638
	v_lshlrev_b32_e32 v35, 2, v0                               // 0000000029B0: 24460082
	s_mov_b32 s56, 0x100                                       // 0000000029B4: BEB800FF 00000100
	s_mul_i32 s56, s7, s56                                     // 0000000029BC: 92383807
	v_add_u32_e32 v41, s56, v35                                // 0000000029C0: 68524638
	v_lshlrev_b32_e32 v35, 4, v0                               // 0000000029C4: 24460084
	s_mov_b32 s56, 0x800                                       // 0000000029C8: BEB800FF 00000800
	s_lshr_b32 s57, s7, 1                                      // 0000000029D0: 8F398107
	s_mul_i32 s56, s57, s56                                    // 0000000029D4: 92383839
	v_add_u32_e32 v42, s56, v35                                // 0000000029D8: 68544638
	v_lshlrev_b32_e32 v35, 4, v0                               // 0000000029DC: 24460084
	s_mov_b32 s56, 0x400                                       // 0000000029E0: BEB800FF 00000400
	s_mul_i32 s56, s7, s56                                     // 0000000029E8: 92383807
	v_add_u32_e32 v43, s56, v35                                // 0000000029EC: 68564638
	v_mov_b32_e32 v76, 0                                       // 0000000029F0: 7E980280
	v_mov_b32_e32 v77, 0                                       // 0000000029F4: 7E9A0280
	v_mov_b32_e32 v78, 0                                       // 0000000029F8: 7E9C0280
	v_mov_b32_e32 v79, 0                                       // 0000000029FC: 7E9E0280
	v_mov_b32_e32 v80, 0                                       // 000000002A00: 7EA00280
	v_mov_b32_e32 v81, 0                                       // 000000002A04: 7EA20280
	v_mov_b32_e32 v82, 0                                       // 000000002A08: 7EA40280
	v_mov_b32_e32 v83, 0                                       // 000000002A0C: 7EA60280
	v_mov_b32_e32 v84, 0                                       // 000000002A10: 7EA80280
	v_mov_b32_e32 v85, 0                                       // 000000002A14: 7EAA0280
	v_mov_b32_e32 v86, 0                                       // 000000002A18: 7EAC0280
	v_mov_b32_e32 v87, 0                                       // 000000002A1C: 7EAE0280
	v_mov_b32_e32 v88, 0                                       // 000000002A20: 7EB00280
	v_mov_b32_e32 v89, 0                                       // 000000002A24: 7EB20280
	v_mov_b32_e32 v90, 0                                       // 000000002A28: 7EB40280
	v_mov_b32_e32 v91, 0                                       // 000000002A2C: 7EB60280
	v_mov_b32_e32 v92, 0                                       // 000000002A30: 7EB80280
	v_mov_b32_e32 v93, 0                                       // 000000002A34: 7EBA0280
	v_mov_b32_e32 v94, 0                                       // 000000002A38: 7EBC0280
	v_mov_b32_e32 v95, 0                                       // 000000002A3C: 7EBE0280
	v_mov_b32_e32 v96, 0                                       // 000000002A40: 7EC00280
	v_mov_b32_e32 v97, 0                                       // 000000002A44: 7EC20280
	v_mov_b32_e32 v98, 0                                       // 000000002A48: 7EC40280
	v_mov_b32_e32 v99, 0                                       // 000000002A4C: 7EC60280
	v_mov_b32_e32 v100, 0                                      // 000000002A50: 7EC80280
	v_mov_b32_e32 v101, 0                                      // 000000002A54: 7ECA0280
	v_mov_b32_e32 v102, 0                                      // 000000002A58: 7ECC0280
	v_mov_b32_e32 v103, 0                                      // 000000002A5C: 7ECE0280
	v_mov_b32_e32 v104, 0                                      // 000000002A60: 7ED00280
	v_mov_b32_e32 v105, 0                                      // 000000002A64: 7ED20280
	v_mov_b32_e32 v106, 0                                      // 000000002A68: 7ED40280
	v_mov_b32_e32 v107, 0                                      // 000000002A6C: 7ED60280
	v_mov_b32_e32 v108, 0                                      // 000000002A70: 7ED80280
	v_mov_b32_e32 v109, 0                                      // 000000002A74: 7EDA0280
	v_mov_b32_e32 v110, 0                                      // 000000002A78: 7EDC0280
	v_mov_b32_e32 v111, 0                                      // 000000002A7C: 7EDE0280
	v_mov_b32_e32 v112, 0                                      // 000000002A80: 7EE00280
	v_mov_b32_e32 v113, 0                                      // 000000002A84: 7EE20280
	v_mov_b32_e32 v114, 0                                      // 000000002A88: 7EE40280
	v_mov_b32_e32 v115, 0                                      // 000000002A8C: 7EE60280
	v_mov_b32_e32 v116, 0                                      // 000000002A90: 7EE80280
	v_mov_b32_e32 v117, 0                                      // 000000002A94: 7EEA0280
	v_mov_b32_e32 v118, 0                                      // 000000002A98: 7EEC0280
	v_mov_b32_e32 v119, 0                                      // 000000002A9C: 7EEE0280
	v_mov_b32_e32 v120, 0                                      // 000000002AA0: 7EF00280
	v_mov_b32_e32 v121, 0                                      // 000000002AA4: 7EF20280
	v_mov_b32_e32 v122, 0                                      // 000000002AA8: 7EF40280
	v_mov_b32_e32 v123, 0                                      // 000000002AAC: 7EF60280
	v_mov_b32_e32 v124, 0                                      // 000000002AB0: 7EF80280
	v_mov_b32_e32 v125, 0                                      // 000000002AB4: 7EFA0280
	v_mov_b32_e32 v126, 0                                      // 000000002AB8: 7EFC0280
	v_mov_b32_e32 v127, 0                                      // 000000002ABC: 7EFE0280
	v_mov_b32_e32 v128, 0                                      // 000000002AC0: 7F000280
	v_mov_b32_e32 v129, 0                                      // 000000002AC4: 7F020280
	v_mov_b32_e32 v130, 0                                      // 000000002AC8: 7F040280
	v_mov_b32_e32 v131, 0                                      // 000000002ACC: 7F060280
	v_mov_b32_e32 v132, 0                                      // 000000002AD0: 7F080280
	v_mov_b32_e32 v133, 0                                      // 000000002AD4: 7F0A0280
	v_mov_b32_e32 v134, 0                                      // 000000002AD8: 7F0C0280
	v_mov_b32_e32 v135, 0                                      // 000000002ADC: 7F0E0280
	v_mov_b32_e32 v136, 0                                      // 000000002AE0: 7F100280
	v_mov_b32_e32 v137, 0                                      // 000000002AE4: 7F120280
	v_mov_b32_e32 v138, 0                                      // 000000002AE8: 7F140280
	v_mov_b32_e32 v139, 0                                      // 000000002AEC: 7F160280
	v_mov_b32_e32 v140, 0                                      // 000000002AF0: 7F180280
	v_mov_b32_e32 v141, 0                                      // 000000002AF4: 7F1A0280
	v_mov_b32_e32 v142, 0                                      // 000000002AF8: 7F1C0280
	v_mov_b32_e32 v143, 0                                      // 000000002AFC: 7F1E0280
	v_mov_b32_e32 v144, 0                                      // 000000002B00: 7F200280
	v_mov_b32_e32 v145, 0                                      // 000000002B04: 7F220280
	v_mov_b32_e32 v146, 0                                      // 000000002B08: 7F240280
	v_mov_b32_e32 v147, 0                                      // 000000002B0C: 7F260280
	v_mov_b32_e32 v148, 0                                      // 000000002B10: 7F280280
	v_mov_b32_e32 v149, 0                                      // 000000002B14: 7F2A0280
	v_mov_b32_e32 v150, 0                                      // 000000002B18: 7F2C0280
	v_mov_b32_e32 v151, 0                                      // 000000002B1C: 7F2E0280
	v_mov_b32_e32 v152, 0                                      // 000000002B20: 7F300280
	v_mov_b32_e32 v153, 0                                      // 000000002B24: 7F320280
	v_mov_b32_e32 v154, 0                                      // 000000002B28: 7F340280
	v_mov_b32_e32 v155, 0                                      // 000000002B2C: 7F360280
	v_mov_b32_e32 v156, 0                                      // 000000002B30: 7F380280
	v_mov_b32_e32 v157, 0                                      // 000000002B34: 7F3A0280
	v_mov_b32_e32 v158, 0                                      // 000000002B38: 7F3C0280
	v_mov_b32_e32 v159, 0                                      // 000000002B3C: 7F3E0280
	v_mov_b32_e32 v160, 0                                      // 000000002B40: 7F400280
	v_mov_b32_e32 v161, 0                                      // 000000002B44: 7F420280
	v_mov_b32_e32 v162, 0                                      // 000000002B48: 7F440280
	v_mov_b32_e32 v163, 0                                      // 000000002B4C: 7F460280
	v_mov_b32_e32 v164, 0                                      // 000000002B50: 7F480280
	v_mov_b32_e32 v165, 0                                      // 000000002B54: 7F4A0280
	v_mov_b32_e32 v166, 0                                      // 000000002B58: 7F4C0280
	v_mov_b32_e32 v167, 0                                      // 000000002B5C: 7F4E0280
	v_mov_b32_e32 v168, 0                                      // 000000002B60: 7F500280
	v_mov_b32_e32 v169, 0                                      // 000000002B64: 7F520280
	v_mov_b32_e32 v170, 0                                      // 000000002B68: 7F540280
	v_mov_b32_e32 v171, 0                                      // 000000002B6C: 7F560280
	v_mov_b32_e32 v172, 0                                      // 000000002B70: 7F580280
	v_mov_b32_e32 v173, 0                                      // 000000002B74: 7F5A0280
	v_mov_b32_e32 v174, 0                                      // 000000002B78: 7F5C0280
	v_mov_b32_e32 v175, 0                                      // 000000002B7C: 7F5E0280
	v_mov_b32_e32 v176, 0                                      // 000000002B80: 7F600280
	v_mov_b32_e32 v177, 0                                      // 000000002B84: 7F620280
	v_mov_b32_e32 v178, 0                                      // 000000002B88: 7F640280
	v_mov_b32_e32 v179, 0                                      // 000000002B8C: 7F660280
	v_mov_b32_e32 v180, 0                                      // 000000002B90: 7F680280
	v_mov_b32_e32 v181, 0                                      // 000000002B94: 7F6A0280
	v_mov_b32_e32 v182, 0                                      // 000000002B98: 7F6C0280
	v_mov_b32_e32 v183, 0                                      // 000000002B9C: 7F6E0280
	v_mov_b32_e32 v184, 0                                      // 000000002BA0: 7F700280
	v_mov_b32_e32 v185, 0                                      // 000000002BA4: 7F720280
	v_mov_b32_e32 v186, 0                                      // 000000002BA8: 7F740280
	v_mov_b32_e32 v187, 0                                      // 000000002BAC: 7F760280
	v_mov_b32_e32 v188, 0                                      // 000000002BB0: 7F780280
	v_mov_b32_e32 v189, 0                                      // 000000002BB4: 7F7A0280
	v_mov_b32_e32 v190, 0                                      // 000000002BB8: 7F7C0280
	v_mov_b32_e32 v191, 0                                      // 000000002BBC: 7F7E0280
	v_mov_b32_e32 v192, 0                                      // 000000002BC0: 7F800280
	v_mov_b32_e32 v193, 0                                      // 000000002BC4: 7F820280
	v_mov_b32_e32 v194, 0                                      // 000000002BC8: 7F840280
	v_mov_b32_e32 v195, 0                                      // 000000002BCC: 7F860280
	v_mov_b32_e32 v196, 0                                      // 000000002BD0: 7F880280
	v_mov_b32_e32 v197, 0                                      // 000000002BD4: 7F8A0280
	v_mov_b32_e32 v198, 0                                      // 000000002BD8: 7F8C0280
	v_mov_b32_e32 v199, 0                                      // 000000002BDC: 7F8E0280
	v_mov_b32_e32 v200, 0                                      // 000000002BE0: 7F900280
	v_mov_b32_e32 v201, 0                                      // 000000002BE4: 7F920280
	v_mov_b32_e32 v202, 0                                      // 000000002BE8: 7F940280
	v_mov_b32_e32 v203, 0                                      // 000000002BEC: 7F960280
	s_waitcnt lgkmcnt(0)                                       // 000000002BF0: BF8CC07F
	v_mul_u32_u24_e64 v217, v30, s68                           // 000000002BF4: D10800D9 0000891E
	v_add_u32_e32 v217, v217, v1                               // 000000002BFC: 69B203D9
	s_mov_b32 s56, 0xb000                                      // 000000002C00: BEB800FF 0000B000
	s_mul_i32 s57, s7, 0x2400                                  // 000000002C08: 9239FF07 00002400
	s_add_u32 m0, s56, s57                                     // 000000002C10: 807C3938
	buffer_load_dwordx4 v217, s[20:23], 0 offen lds            // 000000002C14: E05D1000 800500D9
	s_add_i32 m0, m0, 0x3c0                                    // 000000002C1C: 817CFF7C 000003C0
	buffer_load_dwordx4 v217, s[20:23], 0 offen offset:64 lds  // 000000002C24: E05D1040 800500D9
	s_add_i32 m0, m0, 0x3c0                                    // 000000002C2C: 817CFF7C 000003C0
	buffer_load_dwordx4 v217, s[20:23], 0 offen offset:128 lds // 000000002C34: E05D1080 800500D9
	s_add_i32 m0, m0, 0x3c0                                    // 000000002C3C: 817CFF7C 000003C0
	buffer_load_dwordx4 v217, s[20:23], 0 offen offset:192 lds // 000000002C44: E05D10C0 800500D9
	s_add_i32 m0, m0, 0x3c0                                    // 000000002C4C: 817CFF7C 000003C0
	buffer_load_dwordx4 v217, s[20:23], 0 offen offset:256 lds // 000000002C54: E05D1100 800500D9
	s_add_i32 m0, m0, 0x3c0                                    // 000000002C5C: 817CFF7C 000003C0
	buffer_load_dwordx4 v217, s[20:23], 0 offen offset:320 lds // 000000002C64: E05D1140 800500D9
	s_add_i32 m0, m0, 0x3c0                                    // 000000002C6C: 817CFF7C 000003C0
	buffer_load_dwordx4 v217, s[20:23], 0 offen offset:384 lds // 000000002C74: E05D1180 800500D9
	s_add_i32 m0, m0, 0x3c0                                    // 000000002C7C: 817CFF7C 000003C0
	buffer_load_dwordx4 v217, s[20:23], 0 offen offset:448 lds // 000000002C84: E05D11C0 800500D9
	s_add_i32 m0, m0, 0x3c0                                    // 000000002C8C: 817CFF7C 000003C0
	buffer_load_dwordx4 v217, s[20:23], 0 offen offset:512 lds // 000000002C94: E05D1200 800500D9
	s_add_i32 m0, m0, 0x3c0                                    // 000000002C9C: 817CFF7C 000003C0
	buffer_load_dword v32, v34, s[24:27], 0 offen              // 000000002CA4: E0501000 80062022
	v_add_u32_e32 v34, s73, v34                                // 000000002CAC: 68444449
	v_and_b32_e32 v35, 15, v0                                  // 000000002CB0: 2646008F
	v_lshlrev_b32_e32 v35, 4, v35                              // 000000002CB4: 24464684
	v_and_b32_e32 v36, 31, v0                                  // 000000002CB8: 2648009F
	v_lshrrev_b32_e32 v36, 4, v36                              // 000000002CBC: 20484884
	s_mov_b32 s56, 0x900                                       // 000000002CC0: BEB800FF 00000900
	v_mul_i32_i24_e32 v36, s56, v36                            // 000000002CC8: 0C484838
	v_add_u32_e32 v22, v35, v36                                // 000000002CCC: 682C4923
	v_mov_b32_e32 v23, v22                                     // 000000002CD0: 7E2E0316
	v_and_b32_e32 v35, 15, v0                                  // 000000002CD4: 2646008F
	v_lshrrev_b32_e32 v35, 3, v35                              // 000000002CD8: 20464683
	v_lshlrev_b32_e32 v35, 3, v35                              // 000000002CDC: 24464683
	v_lshrrev_b32_e32 v36, 5, v0                               // 000000002CE0: 20480085
	v_lshlrev_b32_e32 v36, 2, v36                              // 000000002CE4: 24484882
	v_add_u32_e32 v22, v22, v35                                // 000000002CE8: 682C4716
	v_add_u32_e32 v22, v22, v36                                // 000000002CEC: 682C4916
	v_and_b32_e32 v35, 15, v0                                  // 000000002CF0: 2646008F
	v_lshrrev_b32_e32 v35, 3, v35                              // 000000002CF4: 20464683
	s_mov_b32 s56, 1                                           // 000000002CF8: BEB80081
	v_mov_b32_e32 v36, s56                                     // 000000002CFC: 7E480238
	v_xor_b32_e32 v35, v36, v35                                // 000000002D00: 2A464724
	v_lshlrev_b32_e32 v35, 3, v35                              // 000000002D04: 24464683
	v_lshrrev_b32_e32 v36, 5, v0                               // 000000002D08: 20480085
	v_lshlrev_b32_e32 v36, 2, v36                              // 000000002D0C: 24484882
	v_add_u32_e32 v23, v23, v35                                // 000000002D10: 682E4717
	v_add_u32_e32 v23, v23, v36                                // 000000002D14: 682E4917
	s_mov_b32 s56, 0                                           // 000000002D18: BEB80080
	v_lshlrev_b32_e32 v22, 2, v22                              // 000000002D1C: 242C2C82
	v_lshlrev_b32_e32 v23, 2, v23                              // 000000002D20: 242E2E82
	s_and_b32 s56, s7, 1                                       // 000000002D24: 86388107
	s_mov_b32 s57, 0x4800                                      // 000000002D28: BEB900FF 00004800
	s_mul_i32 s56, s57, s56                                    // 000000002D30: 92383839
	v_add_u32_e32 v22, s56, v22                                // 000000002D34: 682C2C38
	v_add_u32_e32 v23, s56, v23                                // 000000002D38: 682E2E38
	s_mov_b32 s56, 0x2000                                      // 000000002D3C: BEB800FF 00002000
	v_add_u32_e32 v22, s56, v22                                // 000000002D44: 682C2C38
	v_add_u32_e32 v23, s56, v23                                // 000000002D48: 682E2E38
	s_mov_b32 s57, 0x9000                                      // 000000002D4C: BEB900FF 00009000
	v_add_u32_e32 v24, s57, v22                                // 000000002D54: 68302C39
	v_add_u32_e32 v25, s57, v23                                // 000000002D58: 68322E39
	v_add_u32_e32 v26, s57, v24                                // 000000002D5C: 68343039
	v_add_u32_e32 v27, s57, v25                                // 000000002D60: 68363239
	v_add_u32_e32 v28, s57, v26                                // 000000002D64: 68383439
	v_add_u32_e32 v29, s57, v27                                // 000000002D68: 683A3639
	v_and_b32_e32 v35, 15, v0                                  // 000000002D6C: 2646008F
	v_lshrrev_b32_e32 v35, 1, v35                              // 000000002D70: 20464681
	v_lshlrev_b32_e32 v35, 4, v35                              // 000000002D74: 24464684
	v_and_b32_e32 v36, 1, v0                                   // 000000002D78: 26480081
	v_lshlrev_b32_e32 v36, 1, v36                              // 000000002D7C: 24484881
	v_and_b32_e32 v37, 31, v0                                  // 000000002D80: 264A009F
	v_lshrrev_b32_e32 v37, 4, v37                              // 000000002D84: 204A4A84
	v_lshlrev_b32_e32 v37, 2, v37                              // 000000002D88: 244A4A82
	v_lshrrev_b32_e32 v38, 5, v0                               // 000000002D8C: 204C0085
	s_mov_b32 s56, 0x900                                       // 000000002D90: BEB800FF 00000900
	v_mul_i32_i24_e32 v38, s56, v38                            // 000000002D98: 0C4C4C38
	v_add_u32_e32 v5, v35, v36                                 // 000000002D9C: 680A4923
	v_add_u32_e32 v5, v37, v5                                  // 000000002DA0: 680A0B25
	v_add_u32_e32 v5, v38, v5                                  // 000000002DA4: 680A0B26
	s_mov_b32 s56, 0x88                                        // 000000002DA8: BEB800FF 00000088
	v_add_u32_e32 v6, s56, v5                                  // 000000002DB0: 680C0A38
	s_mov_b32 s56, 8                                           // 000000002DB4: BEB80088
	v_add_u32_e32 v7, s56, v5                                  // 000000002DB8: 680E0A38
	s_mov_b32 s56, 0x80                                        // 000000002DBC: BEB800FF 00000080
	v_add_u32_e32 v8, s56, v5                                  // 000000002DC4: 68100A38
	v_lshlrev_b32_e32 v5, 2, v5                                // 000000002DC8: 240A0A82
	v_lshlrev_b32_e32 v6, 2, v6                                // 000000002DCC: 240C0C82
	v_lshlrev_b32_e32 v7, 2, v7                                // 000000002DD0: 240E0E82
	v_lshlrev_b32_e32 v8, 2, v8                                // 000000002DD4: 24101082
	s_and_b32 s56, s7, 1                                       // 000000002DD8: 86388107
	s_mov_b32 s57, 0x1000                                      // 000000002DDC: BEB900FF 00001000
	s_mul_i32 s56, s56, s57                                    // 000000002DE4: 92383938
	v_add_u32_e32 v5, s56, v5                                  // 000000002DE8: 680A0A38
	v_add_u32_e32 v6, s56, v6                                  // 000000002DEC: 680C0C38
	v_add_u32_e32 v7, s56, v7                                  // 000000002DF0: 680E0E38
	v_add_u32_e32 v8, s56, v8                                  // 000000002DF4: 68101038
	s_mov_b32 s56, 0x2000                                      // 000000002DF8: BEB800FF 00002000
	v_add_u32_e32 v5, s56, v5                                  // 000000002E00: 680A0A38
	v_add_u32_e32 v6, s56, v6                                  // 000000002E04: 680C0C38
	v_add_u32_e32 v7, s56, v7                                  // 000000002E08: 680E0E38
	v_add_u32_e32 v8, s56, v8                                  // 000000002E0C: 68101038
	s_mov_b32 s56, 0x9000                                      // 000000002E10: BEB800FF 00009000
	v_add_u32_e32 v9, s56, v5                                  // 000000002E18: 68120A38
	v_add_u32_e32 v10, s56, v6                                 // 000000002E1C: 68140C38
	v_add_u32_e32 v11, s56, v7                                 // 000000002E20: 68160E38
	v_add_u32_e32 v12, s56, v8                                 // 000000002E24: 68181038
	v_add_u32_e32 v13, s56, v9                                 // 000000002E28: 681A1238
	v_add_u32_e32 v14, s56, v10                                // 000000002E2C: 681C1438
	v_add_u32_e32 v15, s56, v11                                // 000000002E30: 681E1638
	v_add_u32_e32 v16, s56, v12                                // 000000002E34: 68201838
	v_add_u32_e32 v17, s56, v13                                // 000000002E38: 68221A38
	v_add_u32_e32 v18, s56, v14                                // 000000002E3C: 68241C38
	v_add_u32_e32 v19, s56, v15                                // 000000002E40: 68261E38
	v_add_u32_e32 v20, s56, v16                                // 000000002E44: 68282038
	v_mul_u32_u24_e64 v217, v31, s68                           // 000000002E48: D10800D9 0000891F
	v_add_u32_e32 v217, v217, v1                               // 000000002E50: 69B203D9
	s_mov_b32 s56, 0x14000                                     // 000000002E54: BEB800FF 00014000
	s_mul_i32 s57, s7, 0x2400                                  // 000000002E5C: 9239FF07 00002400
	s_add_u32 m0, s56, s57                                     // 000000002E64: 807C3938
	buffer_load_dwordx4 v217, s[20:23], 0 offen lds            // 000000002E68: E05D1000 800500D9
	s_add_i32 m0, m0, 0x3c0                                    // 000000002E70: 817CFF7C 000003C0
	buffer_load_dwordx4 v217, s[20:23], 0 offen offset:64 lds  // 000000002E78: E05D1040 800500D9
	s_add_i32 m0, m0, 0x3c0                                    // 000000002E80: 817CFF7C 000003C0
	buffer_load_dwordx4 v217, s[20:23], 0 offen offset:128 lds // 000000002E88: E05D1080 800500D9
	s_add_i32 m0, m0, 0x3c0                                    // 000000002E90: 817CFF7C 000003C0
	buffer_load_dwordx4 v217, s[20:23], 0 offen offset:192 lds // 000000002E98: E05D10C0 800500D9
	s_add_i32 m0, m0, 0x3c0                                    // 000000002EA0: 817CFF7C 000003C0
	buffer_load_dwordx4 v217, s[20:23], 0 offen offset:256 lds // 000000002EA8: E05D1100 800500D9
	s_add_i32 m0, m0, 0x3c0                                    // 000000002EB0: 817CFF7C 000003C0
	buffer_load_dwordx4 v217, s[20:23], 0 offen offset:320 lds // 000000002EB8: E05D1140 800500D9
	s_add_i32 m0, m0, 0x3c0                                    // 000000002EC0: 817CFF7C 000003C0
	buffer_load_dwordx4 v217, s[20:23], 0 offen offset:384 lds // 000000002EC8: E05D1180 800500D9
	s_add_i32 m0, m0, 0x3c0                                    // 000000002ED0: 817CFF7C 000003C0
	buffer_load_dwordx4 v217, s[20:23], 0 offen offset:448 lds // 000000002ED8: E05D11C0 800500D9
	s_add_i32 m0, m0, 0x3c0                                    // 000000002EE0: 817CFF7C 000003C0
	buffer_load_dwordx4 v217, s[20:23], 0 offen offset:512 lds // 000000002EE8: E05D1200 800500D9
	s_add_i32 m0, m0, 0x3c0                                    // 000000002EF0: 817CFF7C 000003C0
	buffer_load_dword v33, v34, s[24:27], 0 offen              // 000000002EF8: E0501000 80062122
	v_add_u32_e32 v34, s73, v34                                // 000000002F00: 68444449
	s_waitcnt vmcnt(10)                                        // 000000002F04: BF8C0F7A
	s_barrier                                                  // 000000002F08: BF8A0000
	s_waitcnt lgkmcnt(0)                                       // 000000002F0C: BF8CC07F
	ds_read_b128 a[72:75], v24                                 // 000000002F10: DBFE0000 48000018
	ds_read_b128 a[76:79], v25                                 // 000000002F18: DBFE0000 4C000019
	ds_read_b128 a[80:83], v24 offset:1024                     // 000000002F20: DBFE0400 50000018
	ds_read_b128 a[84:87], v25 offset:1024                     // 000000002F28: DBFE0400 54000019
	ds_read_b128 a[88:91], v24 offset:2048                     // 000000002F30: DBFE0800 58000018
	ds_read_b128 a[92:95], v25 offset:2048                     // 000000002F38: DBFE0800 5C000019
	ds_read_b128 a[96:99], v24 offset:3072                     // 000000002F40: DBFE0C00 60000018
	ds_read_b128 a[100:103], v25 offset:3072                   // 000000002F48: DBFE0C00 64000019
	ds_read_b128 a[104:107], v24 offset:4096                   // 000000002F50: DBFE1000 68000018
	ds_read_b128 a[108:111], v25 offset:4096                   // 000000002F58: DBFE1000 6C000019
	ds_read_b128 a[112:115], v24 offset:5120                   // 000000002F60: DBFE1400 70000018
	ds_read_b128 a[116:119], v25 offset:5120                   // 000000002F68: DBFE1400 74000019
	ds_read_b128 a[120:123], v24 offset:6144                   // 000000002F70: DBFE1800 78000018
	ds_read_b128 a[124:127], v25 offset:6144                   // 000000002F78: DBFE1800 7C000019
	ds_read_b128 a[128:131], v24 offset:7168                   // 000000002F80: DBFE1C00 80000018
	ds_read_b128 a[132:135], v25 offset:7168                   // 000000002F88: DBFE1C00 84000019
	ds_read_b128 a[136:139], v24 offset:8192                   // 000000002F90: DBFE2000 88000018
	ds_read_b128 a[140:143], v25 offset:8192                   // 000000002F98: DBFE2000 8C000019
	s_cmp_lt_u32 s71, 1                                        // 000000002FA0: BF0A8147
	s_cselect_b32 s83, 64, 0                                   // 000000002FA4: 855380C0
	s_cbranch_scc1 label_5CC0                                  // 000000002FA8: BF851405
	s_waitcnt lgkmcnt(4)                                       // 000000002FAC: BF8CC47F
	s_waitcnt vmcnt(0)                                         // 000000002FB0: BF8C0F70
	s_barrier                                                  // 000000002FB4: BF8A0000
	v_mfma_f32_32x32x64_f8f6f4 v[44:59], a[72:79], a[0:7], 0   // 000000002FB8: D3AE002C 1A020148
	v_mul_u32_u24_e64 v217, v32, s68                           // 000000002FC0: D10800D9 00008920
	v_add_u32_e32 v217, v217, v1                               // 000000002FC8: 69B203D9
	buffer_load_dword v30, v34, s[24:27], 0 offen              // 000000002FCC: E0501000 80061E22
	ds_read_b128 a[72:75], v26                                 // 000000002FD4: DBFE0000 4800001A
	ds_read_b128 a[76:79], v27                                 // 000000002FDC: DBFE0000 4C00001B
	v_mfma_f32_32x32x64_f8f6f4 v[44:59], a[80:87], a[8:15], v[44:59]// 000000002FE4: D3AE002C 1CB21150
	s_mov_b32 s56, 0x1d000                                     // 000000002FEC: BEB800FF 0001D000
	s_mul_i32 s57, s7, 0x2400                                  // 000000002FF4: 9239FF07 00002400
	s_add_u32 m0, s56, s57                                     // 000000002FFC: 807C3938
	buffer_load_dwordx4 v217, s[20:23], 0 offen lds            // 000000003000: E05D1000 800500D9
	s_add_i32 m0, m0, 0x3c0                                    // 000000003008: 817CFF7C 000003C0
	ds_read_b128 a[80:83], v26 offset:1024                     // 000000003010: DBFE0400 5000001A
	ds_read_b128 a[84:87], v27 offset:1024                     // 000000003018: DBFE0400 5400001B
	v_mfma_f32_32x32x64_f8f6f4 v[44:59], a[88:95], a[16:23], v[44:59]// 000000003020: D3AE002C 1CB22158
	ds_read_b128 a[88:91], v26 offset:2048                     // 000000003028: DBFE0800 5800001A
	ds_read_b128 a[92:95], v27 offset:2048                     // 000000003030: DBFE0800 5C00001B
	v_mfma_f32_32x32x64_f8f6f4 v[44:59], a[96:103], a[24:31], v[44:59]// 000000003038: D3AE002C 1CB23160
	buffer_load_dwordx4 v217, s[20:23], 0 offen offset:64 lds  // 000000003040: E05D1040 800500D9
	s_add_i32 m0, m0, 0x3c0                                    // 000000003048: 817CFF7C 000003C0
	ds_read_b128 a[96:99], v26 offset:3072                     // 000000003050: DBFE0C00 6000001A
	ds_read_b128 a[100:103], v27 offset:3072                   // 000000003058: DBFE0C00 6400001B
	v_mfma_f32_32x32x64_f8f6f4 v[44:59], a[104:111], a[32:39], v[44:59]// 000000003060: D3AE002C 1CB24168
	ds_read_b128 a[104:107], v26 offset:4096                   // 000000003068: DBFE1000 6800001A
	ds_read_b128 a[108:111], v27 offset:4096                   // 000000003070: DBFE1000 6C00001B
	v_mfma_f32_32x32x64_f8f6f4 v[44:59], a[112:119], a[40:47], v[44:59]// 000000003078: D3AE002C 1CB25170
	buffer_load_dwordx4 v217, s[20:23], 0 offen offset:128 lds // 000000003080: E05D1080 800500D9
	s_add_i32 m0, m0, 0x3c0                                    // 000000003088: 817CFF7C 000003C0
	ds_read_b128 a[112:115], v26 offset:5120                   // 000000003090: DBFE1400 7000001A
	ds_read_b128 a[116:119], v27 offset:5120                   // 000000003098: DBFE1400 7400001B
	v_mfma_f32_32x32x64_f8f6f4 v[44:59], a[120:127], a[48:55], v[44:59]// 0000000030A0: D3AE002C 1CB26178
	ds_read_b128 a[120:123], v26 offset:6144                   // 0000000030A8: DBFE1800 7800001A
	ds_read_b128 a[124:127], v27 offset:6144                   // 0000000030B0: DBFE1800 7C00001B
	v_mfma_f32_32x32x64_f8f6f4 v[44:59], a[128:135], a[56:63], v[44:59]// 0000000030B8: D3AE002C 1CB27180
	buffer_load_dwordx4 v217, s[20:23], 0 offen offset:192 lds // 0000000030C0: E05D10C0 800500D9
	s_add_i32 m0, m0, 0x3c0                                    // 0000000030C8: 817CFF7C 000003C0
	ds_read_b128 a[128:131], v26 offset:7168                   // 0000000030D0: DBFE1C00 8000001A
	ds_read_b128 a[132:135], v27 offset:7168                   // 0000000030D8: DBFE1C00 8400001B
	v_mfma_f32_32x32x64_f8f6f4 v[44:59], a[136:143], a[64:71], v[44:59]// 0000000030E0: D3AE002C 1CB28188
	ds_read_b128 a[136:139], v26 offset:8192                   // 0000000030E8: DBFE2000 8800001A
	ds_read_b128 a[140:143], v27 offset:8192                   // 0000000030F0: DBFE2000 8C00001B
	buffer_load_dwordx4 v217, s[20:23], 0 offen offset:256 lds // 0000000030F8: E05D1100 800500D9
	s_add_i32 m0, m0, 0x3c0                                    // 000000003100: 817CFF7C 000003C0
	buffer_load_dwordx4 v217, s[20:23], 0 offen offset:320 lds // 000000003108: E05D1140 800500D9
	s_add_i32 m0, m0, 0x3c0                                    // 000000003110: 817CFF7C 000003C0
	buffer_load_dwordx4 v217, s[20:23], 0 offen offset:384 lds // 000000003118: E05D1180 800500D9
	s_add_i32 m0, m0, 0x3c0                                    // 000000003120: 817CFF7C 000003C0
	buffer_load_dwordx4 v217, s[20:23], 0 offen offset:448 lds // 000000003128: E05D11C0 800500D9
	s_add_i32 m0, m0, 0x3c0                                    // 000000003130: 817CFF7C 000003C0
	buffer_load_dwordx4 v217, s[20:23], 0 offen offset:512 lds // 000000003138: E05D1200 800500D9
	s_add_i32 m0, m0, 0x3c0                                    // 000000003140: 817CFF7C 000003C0
	v_add_u32_e32 v34, s73, v34                                // 000000003148: 68444449
	s_mov_b32 s83, 64                                          // 00000000314C: BED300C0
	s_cmp_le_i32 s83, s82                                      // 000000003150: BF055253
	s_cbranch_scc1 label_1024                                  // 000000003154: BF850073
	v_and_b32_e32 v35, 31, v0                                  // 000000003158: 2646009F
	v_lshrrev_b32_e32 v35, 3, v35                              // 00000000315C: 20464683
	v_add_u32_e32 v35, s82, v35                                // 000000003160: 68464652
	s_and_b32 s56, 2, s7                                       // 000000003164: 86380782
	s_lshl_b32 s56, s56, 1                                     // 000000003168: 8E388138
	v_add_u32_e32 v35, s56, v35                                // 00000000316C: 68464638
	s_sub_u32 s56, s83, 64                                     // 000000003170: 80B8C053
	v_lshrrev_b32_e32 v204, 5, v0                              // 000000003174: 21980085
	v_mul_i32_i24_e32 v204, 4, v204                            // 000000003178: 0D999884
	v_add_u32_e32 v204, s56, v204                              // 00000000317C: 69999838
	s_and_b32 s56, s7, 1                                       // 000000003180: 86388107
	s_mov_b32 s57, 32                                          // 000000003184: BEB900A0
	s_mul_i32 s56, s57, s56                                    // 000000003188: 92383839
	v_add_u32_e32 v204, s56, v204                              // 00000000318C: 69999838
	v_add_u32_e32 v205, 1, v204                                // 000000003190: 699B9881
	v_add_u32_e32 v206, 2, v204                                // 000000003194: 699D9882
	v_add_u32_e32 v207, 3, v204                                // 000000003198: 699F9883
	v_mov_b32_e32 v37, 0xff800000                              // 00000000319C: 7E4A02FF FF800000
	v_cmp_le_i32_e64 s[36:37], v204, v35                       // 0000000031A4: D0C30024 000247CC
	s_nop 0                                                    // 0000000031AC: BF800000
	v_cndmask_b32_e64 v44, v37, v44, s[36:37]                  // 0000000031B0: D100002C 00925925
	v_add_u32_e32 v204, 8, v204                                // 0000000031B8: 69999888
	v_cmp_le_i32_e64 s[36:37], v205, v35                       // 0000000031BC: D0C30024 000247CD
	s_nop 0                                                    // 0000000031C4: BF800000
	v_cndmask_b32_e64 v45, v37, v45, s[36:37]                  // 0000000031C8: D100002D 00925B25
	v_add_u32_e32 v205, 8, v205                                // 0000000031D0: 699B9A88
	v_cmp_le_i32_e64 s[36:37], v206, v35                       // 0000000031D4: D0C30024 000247CE
	s_nop 0                                                    // 0000000031DC: BF800000
	v_cndmask_b32_e64 v46, v37, v46, s[36:37]                  // 0000000031E0: D100002E 00925D25
	v_add_u32_e32 v206, 8, v206                                // 0000000031E8: 699D9C88
	v_cmp_le_i32_e64 s[36:37], v207, v35                       // 0000000031EC: D0C30024 000247CF
	s_nop 0                                                    // 0000000031F4: BF800000
	v_cndmask_b32_e64 v47, v37, v47, s[36:37]                  // 0000000031F8: D100002F 00925F25
	v_add_u32_e32 v207, 8, v207                                // 000000003200: 699F9E88
	v_cmp_le_i32_e64 s[36:37], v204, v35                       // 000000003204: D0C30024 000247CC
	s_nop 0                                                    // 00000000320C: BF800000
	v_cndmask_b32_e64 v48, v37, v48, s[36:37]                  // 000000003210: D1000030 00926125
	v_add_u32_e32 v204, 8, v204                                // 000000003218: 69999888
	v_cmp_le_i32_e64 s[36:37], v205, v35                       // 00000000321C: D0C30024 000247CD
	s_nop 0                                                    // 000000003224: BF800000
	v_cndmask_b32_e64 v49, v37, v49, s[36:37]                  // 000000003228: D1000031 00926325
	v_add_u32_e32 v205, 8, v205                                // 000000003230: 699B9A88
	v_cmp_le_i32_e64 s[36:37], v206, v35                       // 000000003234: D0C30024 000247CE
	s_nop 0                                                    // 00000000323C: BF800000
	v_cndmask_b32_e64 v50, v37, v50, s[36:37]                  // 000000003240: D1000032 00926525
	v_add_u32_e32 v206, 8, v206                                // 000000003248: 699D9C88
	v_cmp_le_i32_e64 s[36:37], v207, v35                       // 00000000324C: D0C30024 000247CF
	s_nop 0                                                    // 000000003254: BF800000
	v_cndmask_b32_e64 v51, v37, v51, s[36:37]                  // 000000003258: D1000033 00926725
	v_add_u32_e32 v207, 8, v207                                // 000000003260: 699F9E88
	v_cmp_le_i32_e64 s[36:37], v204, v35                       // 000000003264: D0C30024 000247CC
	s_nop 0                                                    // 00000000326C: BF800000
	v_cndmask_b32_e64 v52, v37, v52, s[36:37]                  // 000000003270: D1000034 00926925
	v_add_u32_e32 v204, 8, v204                                // 000000003278: 69999888
	v_cmp_le_i32_e64 s[36:37], v205, v35                       // 00000000327C: D0C30024 000247CD
	s_nop 0                                                    // 000000003284: BF800000
	v_cndmask_b32_e64 v53, v37, v53, s[36:37]                  // 000000003288: D1000035 00926B25
	v_add_u32_e32 v205, 8, v205                                // 000000003290: 699B9A88
	v_cmp_le_i32_e64 s[36:37], v206, v35                       // 000000003294: D0C30024 000247CE
	s_nop 0                                                    // 00000000329C: BF800000
	v_cndmask_b32_e64 v54, v37, v54, s[36:37]                  // 0000000032A0: D1000036 00926D25
	v_add_u32_e32 v206, 8, v206                                // 0000000032A8: 699D9C88
	v_cmp_le_i32_e64 s[36:37], v207, v35                       // 0000000032AC: D0C30024 000247CF
	s_nop 0                                                    // 0000000032B4: BF800000
	v_cndmask_b32_e64 v55, v37, v55, s[36:37]                  // 0000000032B8: D1000037 00926F25
	v_add_u32_e32 v207, 8, v207                                // 0000000032C0: 699F9E88
	v_cmp_le_i32_e64 s[36:37], v204, v35                       // 0000000032C4: D0C30024 000247CC
	s_nop 0                                                    // 0000000032CC: BF800000
	v_cndmask_b32_e64 v56, v37, v56, s[36:37]                  // 0000000032D0: D1000038 00927125
	v_add_u32_e32 v204, 8, v204                                // 0000000032D8: 69999888
	v_cmp_le_i32_e64 s[36:37], v205, v35                       // 0000000032DC: D0C30024 000247CD
	s_nop 0                                                    // 0000000032E4: BF800000
	v_cndmask_b32_e64 v57, v37, v57, s[36:37]                  // 0000000032E8: D1000039 00927325
	v_add_u32_e32 v205, 8, v205                                // 0000000032F0: 699B9A88
	v_cmp_le_i32_e64 s[36:37], v206, v35                       // 0000000032F4: D0C30024 000247CE
	s_nop 0                                                    // 0000000032FC: BF800000
	v_cndmask_b32_e64 v58, v37, v58, s[36:37]                  // 000000003300: D100003A 00927525
	v_add_u32_e32 v206, 8, v206                                // 000000003308: 699D9C88
	v_cmp_le_i32_e64 s[36:37], v207, v35                       // 00000000330C: D0C30024 000247CF
	s_nop 0                                                    // 000000003314: BF800000
	v_cndmask_b32_e64 v59, v37, v59, s[36:37]                  // 000000003318: D100003B 00927725
	v_add_u32_e32 v207, 8, v207                                // 000000003320: 699F9E88

0000000000003324 <label_1024>:
	s_add_u32 s83, s84, s83                                    // 000000003324: 80535354
	s_nop 2                                                    // 000000003328: BF800002
	v_mov_b32_e32 v213, v44                                    // 00000000332C: 7FAA032C
	v_max3_f32 v213, v44, v45, v213                            // 000000003330: D1D300D5 07565B2C
	v_max3_f32 v213, v46, v47, v213                            // 000000003338: D1D300D5 07565F2E
	v_max3_f32 v213, v48, v49, v213                            // 000000003340: D1D300D5 07566330
	v_max3_f32 v213, v50, v51, v213                            // 000000003348: D1D300D5 07566732
	v_max3_f32 v213, v52, v53, v213                            // 000000003350: D1D300D5 07566B34
	v_max3_f32 v213, v54, v55, v213                            // 000000003358: D1D300D5 07566F36
	v_max3_f32 v213, v56, v57, v213                            // 000000003360: D1D300D5 07567338
	v_max3_f32 v213, v58, v59, v213                            // 000000003368: D1D300D5 0756773A
	v_mov_b32_e32 v35, v213                                    // 000000003370: 7E4603D5
	v_mov_b32_e32 v36, v213                                    // 000000003374: 7E4803D5
	s_nop 1                                                    // 000000003378: BF800001
	v_permlane32_swap_b32_e32 v35, v36                         // 00000000337C: 7E46B524
	v_max3_f32 v213, v35, v36, v213                            // 000000003380: D1D300D5 07564923
	ds_write_b32 v41, v213                                     // 000000003388: D81A0000 0000D529
	s_waitcnt lgkmcnt(0)                                       // 000000003390: BF8CC07F
	s_barrier                                                  // 000000003394: BF8A0000
	ds_read_b32 v35, v40                                       // 000000003398: D86C0000 23000028
	ds_read_b32 v36, v40 offset:256                            // 0000000033A0: D86C0100 24000028
	s_waitcnt lgkmcnt(0)                                       // 0000000033A8: BF8CC07F
	v_max3_f32 v213, v35, v36, v213                            // 0000000033AC: D1D300D5 07564923
	v_mov_b32_e32 v35, 0xff800000                              // 0000000033B4: 7E4602FF FF800000
	v_cmp_eq_u32_e64 s[36:37], v35, v2                         // 0000000033BC: D0CA0024 00020523
	v_max_f32_e32 v216, v213, v2                               // 0000000033C4: 17B005D5
	v_sub_f32_e32 v21, v2, v216                                // 0000000033C8: 042BB102
	v_cndmask_b32_e64 v21, v21, 0, s[36:37]                    // 0000000033CC: D1000015 00910115
	v_mov_b32_e32 v2, v216                                     // 0000000033D4: 7E0403D8
	v_mul_f32_e32 v212, s5, v216                               // 0000000033D8: 0BA9B005
	v_mul_f32_e32 v21, s5, v21                                 // 0000000033DC: 0A2A2A05
	v_exp_f32_e32 v21, v21                                     // 0000000033E0: 7E2A4115
	v_fma_f32 v44, v44, s5, -v212                              // 0000000033E4: D1CB002C 87500B2C
	v_fma_f32 v45, v45, s5, -v212                              // 0000000033EC: D1CB002D 87500B2D
	v_fma_f32 v46, v46, s5, -v212                              // 0000000033F4: D1CB002E 87500B2E
	v_fma_f32 v47, v47, s5, -v212                              // 0000000033FC: D1CB002F 87500B2F
	v_fma_f32 v48, v48, s5, -v212                              // 000000003404: D1CB0030 87500B30
	v_fma_f32 v49, v49, s5, -v212                              // 00000000340C: D1CB0031 87500B31
	v_fma_f32 v50, v50, s5, -v212                              // 000000003414: D1CB0032 87500B32
	v_fma_f32 v51, v51, s5, -v212                              // 00000000341C: D1CB0033 87500B33
	v_fma_f32 v52, v52, s5, -v212                              // 000000003424: D1CB0034 87500B34
	v_fma_f32 v53, v53, s5, -v212                              // 00000000342C: D1CB0035 87500B35
	v_fma_f32 v54, v54, s5, -v212                              // 000000003434: D1CB0036 87500B36
	v_fma_f32 v55, v55, s5, -v212                              // 00000000343C: D1CB0037 87500B37
	v_fma_f32 v56, v56, s5, -v212                              // 000000003444: D1CB0038 87500B38
	v_fma_f32 v57, v57, s5, -v212                              // 00000000344C: D1CB0039 87500B39
	v_fma_f32 v58, v58, s5, -v212                              // 000000003454: D1CB003A 87500B3A
	v_fma_f32 v59, v59, s5, -v212                              // 00000000345C: D1CB003B 87500B3B
	v_mov_b32_e32 v35, 0xffc00000                              // 000000003464: 7E4602FF FFC00000
	v_exp_f32_e32 v44, v44                                     // 00000000346C: 7E58412C
	v_exp_f32_e32 v45, v45                                     // 000000003470: 7E5A412D
	v_exp_f32_e32 v46, v46                                     // 000000003474: 7E5C412E
	v_exp_f32_e32 v47, v47                                     // 000000003478: 7E5E412F
	v_exp_f32_e32 v48, v48                                     // 00000000347C: 7E604130
	v_exp_f32_e32 v49, v49                                     // 000000003480: 7E624131
	v_exp_f32_e32 v50, v50                                     // 000000003484: 7E644132
	v_exp_f32_e32 v51, v51                                     // 000000003488: 7E664133
	v_exp_f32_e32 v52, v52                                     // 00000000348C: 7E684134
	v_exp_f32_e32 v53, v53                                     // 000000003490: 7E6A4135
	v_exp_f32_e32 v54, v54                                     // 000000003494: 7E6C4136
	v_exp_f32_e32 v55, v55                                     // 000000003498: 7E6E4137
	v_exp_f32_e32 v56, v56                                     // 00000000349C: 7E704138
	v_exp_f32_e32 v57, v57                                     // 0000000034A0: 7E724139
	v_exp_f32_e32 v58, v58                                     // 0000000034A4: 7E74413A
	v_exp_f32_e32 v59, v59                                     // 0000000034A8: 7E76413B
	v_mul_f32_e32 v4, v21, v4                                  // 0000000034AC: 0A080915
	v_mov_b32_e32 v35, v44                                     // 0000000034B0: 7E46032C
	v_add_f32_e32 v35, v45, v35                                // 0000000034B4: 0246472D
	v_add_f32_e32 v35, v46, v35                                // 0000000034B8: 0246472E
	v_add_f32_e32 v35, v47, v35                                // 0000000034BC: 0246472F
	v_add_f32_e32 v35, v48, v35                                // 0000000034C0: 02464730
	v_add_f32_e32 v35, v49, v35                                // 0000000034C4: 02464731
	v_add_f32_e32 v35, v50, v35                                // 0000000034C8: 02464732
	v_add_f32_e32 v35, v51, v35                                // 0000000034CC: 02464733
	v_add_f32_e32 v35, v52, v35                                // 0000000034D0: 02464734
	v_add_f32_e32 v35, v53, v35                                // 0000000034D4: 02464735
	v_add_f32_e32 v35, v54, v35                                // 0000000034D8: 02464736
	v_add_f32_e32 v35, v55, v35                                // 0000000034DC: 02464737
	v_add_f32_e32 v35, v56, v35                                // 0000000034E0: 02464738
	v_add_f32_e32 v35, v57, v35                                // 0000000034E4: 02464739
	v_add_f32_e32 v35, v58, v35                                // 0000000034E8: 0246473A
	v_add_f32_e32 v35, v59, v35                                // 0000000034EC: 0246473B
	v_add_f32_e32 v4, v35, v4                                  // 0000000034F0: 02080923
	v_cvt_pk_fp8_f32 v44, v44, v45                             // 0000000034F4: D2A2002C 00025B2C
	v_cvt_pk_fp8_f32 v44, v46, v47 op_sel:[0,0,1]              // 0000000034FC: D2A2402C 00025F2E
	v_cvt_pk_fp8_f32 v45, v48, v49                             // 000000003504: D2A2002D 00026330
	v_cvt_pk_fp8_f32 v45, v50, v51 op_sel:[0,0,1]              // 00000000350C: D2A2402D 00026732
	v_cvt_pk_fp8_f32 v46, v52, v53                             // 000000003514: D2A2002E 00026B34
	v_cvt_pk_fp8_f32 v46, v54, v55 op_sel:[0,0,1]              // 00000000351C: D2A2402E 00026F36
	v_cvt_pk_fp8_f32 v47, v56, v57                             // 000000003524: D2A2002F 00027338
	v_cvt_pk_fp8_f32 v47, v58, v59 op_sel:[0,0,1]              // 00000000352C: D2A2402F 0002773A
	ds_write_b128 v43, v[44:47] offset:1024                    // 000000003534: D9BE0400 00002C2B
	s_waitcnt lgkmcnt(0)                                       // 00000000353C: BF8CC07F
	s_barrier                                                  // 000000003540: BF8A0000
	ds_read_b128 v[44:47], v42 offset:1024                     // 000000003544: D9FE0400 2C00002A
	ds_read_b128 v[48:51], v42 offset:2048                     // 00000000354C: D9FE0800 3000002A
	s_waitcnt lgkmcnt(0)                                       // 000000003554: BF8CC07F
	v_permlane32_swap_b32_e32 v44, v46                         // 000000003558: 7E58B52E
	v_permlane32_swap_b32_e32 v45, v47                         // 00000000355C: 7E5AB52F
	v_swap_b32 v45, v46                                        // 000000003560: 7E5AA32E
	v_permlane32_swap_b32_e32 v48, v50                         // 000000003564: 7E60B532
	v_permlane32_swap_b32_e32 v49, v51                         // 000000003568: 7E62B533
	v_swap_b32 v49, v50                                        // 00000000356C: 7E62A332
	s_addk_i32 s70, 0x1                                        // 000000003570: B7460001
	s_cmp_eq_u32 s71, s70                                      // 000000003574: BF064647
	s_cbranch_scc1 label_357C                                  // 000000003578: BF8508C0
	s_waitcnt lgkmcnt(4)                                       // 00000000357C: BF8CC47F
	v_mfma_f32_32x32x64_f8f6f4 v[60:75], a[72:79], a[0:7], 0   // 000000003580: D3AE003C 1A020148
	v_mul_u32_u24_e64 v217, v33, s68                           // 000000003588: D10800D9 00008921
	v_add_u32_e32 v217, v217, v1                               // 000000003590: 69B203D9
	buffer_load_dword v31, v34, s[24:27], 0 offen              // 000000003594: E0501000 80061F22
	ds_read_b64_tr_b8 a[72:73], v9                             // 00000000359C: DBC40000 48000009
	ds_read_b64_tr_b8 a[74:75], v10                            // 0000000035A4: DBC40000 4A00000A
	ds_read_b64_tr_b8 a[76:77], v9 offset:18432                // 0000000035AC: DBC44800 4C000009
	ds_read_b64_tr_b8 a[78:79], v10 offset:18432               // 0000000035B4: DBC44800 4E00000A
	v_mfma_f32_32x32x64_f8f6f4 v[60:75], a[80:87], a[8:15], v[60:75]// 0000000035BC: D3AE003C 1CF21150
	s_mov_b32 s56, 0x2000                                      // 0000000035C4: BEB800FF 00002000
	s_mul_i32 s57, s7, 0x2400                                  // 0000000035CC: 9239FF07 00002400
	s_add_u32 m0, s56, s57                                     // 0000000035D4: 807C3938
	buffer_load_dwordx4 v217, s[20:23], 0 offen lds            // 0000000035D8: E05D1000 800500D9
	s_add_i32 m0, m0, 0x3c0                                    // 0000000035E0: 817CFF7C 000003C0
	ds_read_b64_tr_b8 a[80:81], v11                            // 0000000035E8: DBC40000 5000000B
	ds_read_b64_tr_b8 a[82:83], v12                            // 0000000035F0: DBC40000 5200000C
	ds_read_b64_tr_b8 a[84:85], v11 offset:18432               // 0000000035F8: DBC44800 5400000B
	ds_read_b64_tr_b8 a[86:87], v12 offset:18432               // 000000003600: DBC44800 5600000C
	v_mfma_f32_32x32x64_f8f6f4 v[60:75], a[88:95], a[16:23], v[60:75]// 000000003608: D3AE003C 1CF22158
	ds_read_b64_tr_b8 a[88:89], v9 offset:1024                 // 000000003610: DBC40400 58000009
	ds_read_b64_tr_b8 a[90:91], v10 offset:1024                // 000000003618: DBC40400 5A00000A
	ds_read_b64_tr_b8 a[92:93], v9 offset:19456                // 000000003620: DBC44C00 5C000009
	ds_read_b64_tr_b8 a[94:95], v10 offset:19456               // 000000003628: DBC44C00 5E00000A
	v_mfma_f32_32x32x64_f8f6f4 v[60:75], a[96:103], a[24:31], v[60:75]// 000000003630: D3AE003C 1CF23160
	buffer_load_dwordx4 v217, s[20:23], 0 offen offset:64 lds  // 000000003638: E05D1040 800500D9
	s_add_i32 m0, m0, 0x3c0                                    // 000000003640: 817CFF7C 000003C0
	ds_read_b64_tr_b8 a[96:97], v11 offset:1024                // 000000003648: DBC40400 6000000B
	ds_read_b64_tr_b8 a[98:99], v12 offset:1024                // 000000003650: DBC40400 6200000C
	ds_read_b64_tr_b8 a[100:101], v11 offset:19456             // 000000003658: DBC44C00 6400000B
	ds_read_b64_tr_b8 a[102:103], v12 offset:19456             // 000000003660: DBC44C00 6600000C
	v_mfma_f32_32x32x64_f8f6f4 v[60:75], a[104:111], a[32:39], v[60:75]// 000000003668: D3AE003C 1CF24168
	ds_read_b64_tr_b8 a[104:105], v9 offset:2048               // 000000003670: DBC40800 68000009
	ds_read_b64_tr_b8 a[106:107], v10 offset:2048              // 000000003678: DBC40800 6A00000A
	ds_read_b64_tr_b8 a[108:109], v9 offset:20480              // 000000003680: DBC45000 6C000009
	ds_read_b64_tr_b8 a[110:111], v10 offset:20480             // 000000003688: DBC45000 6E00000A
	v_mfma_f32_32x32x64_f8f6f4 v[60:75], a[112:119], a[40:47], v[60:75]// 000000003690: D3AE003C 1CF25170
	buffer_load_dwordx4 v217, s[20:23], 0 offen offset:128 lds // 000000003698: E05D1080 800500D9
	s_add_i32 m0, m0, 0x3c0                                    // 0000000036A0: 817CFF7C 000003C0
	ds_read_b64_tr_b8 a[112:113], v11 offset:2048              // 0000000036A8: DBC40800 7000000B
	ds_read_b64_tr_b8 a[114:115], v12 offset:2048              // 0000000036B0: DBC40800 7200000C
	ds_read_b64_tr_b8 a[116:117], v11 offset:20480             // 0000000036B8: DBC45000 7400000B
	ds_read_b64_tr_b8 a[118:119], v12 offset:20480             // 0000000036C0: DBC45000 7600000C
	v_mfma_f32_32x32x64_f8f6f4 v[60:75], a[120:127], a[48:55], v[60:75]// 0000000036C8: D3AE003C 1CF26178
	ds_read_b64_tr_b8 a[120:121], v9 offset:3072               // 0000000036D0: DBC40C00 78000009
	ds_read_b64_tr_b8 a[122:123], v10 offset:3072              // 0000000036D8: DBC40C00 7A00000A
	ds_read_b64_tr_b8 a[124:125], v9 offset:21504              // 0000000036E0: DBC45400 7C000009
	ds_read_b64_tr_b8 a[126:127], v10 offset:21504             // 0000000036E8: DBC45400 7E00000A
	v_mfma_f32_32x32x64_f8f6f4 v[60:75], a[128:135], a[56:63], v[60:75]// 0000000036F0: D3AE003C 1CF27180
	buffer_load_dwordx4 v217, s[20:23], 0 offen offset:192 lds // 0000000036F8: E05D10C0 800500D9
	s_add_i32 m0, m0, 0x3c0                                    // 000000003700: 817CFF7C 000003C0
	ds_read_b64_tr_b8 a[128:129], v11 offset:3072              // 000000003708: DBC40C00 8000000B
	ds_read_b64_tr_b8 a[130:131], v12 offset:3072              // 000000003710: DBC40C00 8200000C
	ds_read_b64_tr_b8 a[132:133], v11 offset:21504             // 000000003718: DBC45400 8400000B
	ds_read_b64_tr_b8 a[134:135], v12 offset:21504             // 000000003720: DBC45400 8600000C
	v_mfma_f32_32x32x64_f8f6f4 v[60:75], a[136:143], a[64:71], v[60:75]// 000000003728: D3AE003C 1CF28188
	buffer_load_dwordx4 v217, s[20:23], 0 offen offset:256 lds // 000000003730: E05D1100 800500D9
	s_add_i32 m0, m0, 0x3c0                                    // 000000003738: 817CFF7C 000003C0
	buffer_load_dwordx4 v217, s[20:23], 0 offen offset:320 lds // 000000003740: E05D1140 800500D9
	s_add_i32 m0, m0, 0x3c0                                    // 000000003748: 817CFF7C 000003C0
	buffer_load_dwordx4 v217, s[20:23], 0 offen offset:384 lds // 000000003750: E05D1180 800500D9
	s_add_i32 m0, m0, 0x3c0                                    // 000000003758: 817CFF7C 000003C0
	buffer_load_dwordx4 v217, s[20:23], 0 offen offset:448 lds // 000000003760: E05D11C0 800500D9
	s_add_i32 m0, m0, 0x3c0                                    // 000000003768: 817CFF7C 000003C0
	buffer_load_dwordx4 v217, s[20:23], 0 offen offset:512 lds // 000000003770: E05D1200 800500D9
	s_add_i32 m0, m0, 0x3c0                                    // 000000003778: 817CFF7C 000003C0
	v_add_u32_e32 v34, s73, v34                                // 000000003780: 68444449
	s_addk_i32 s70, 0x1                                        // 000000003784: B7460001
	s_cmp_eq_u32 s71, s70                                      // 000000003788: BF064647
	s_cbranch_scc1 label_3754                                  // 00000000378C: BF8508B1
	s_cmp_lt_i32 s7, 2                                         // 000000003790: BF048207
	s_cbranch_scc0 label_3178                                  // 000000003794: BF840738

0000000000003798 <label_1498>:
	v_mul_u32_u24_e64 v217, v30, s68                           // 000000003798: D10800D9 0000891E
	v_add_u32_e32 v217, v217, v1                               // 0000000037A0: 69B203D9
	s_waitcnt vmcnt(10)                                        // 0000000037A4: BF8C0F7A
	s_barrier                                                  // 0000000037A8: BF8A0000
	s_waitcnt lgkmcnt(8)                                       // 0000000037AC: BF8CC87F
	v_mfma_f32_32x32x64_f8f6f4 v[76:91], a[72:79], v[44:51], v[76:91]// 0000000037B0: D3AE004C 0D325948
	ds_read_b128 a[72:75], v28                                 // 0000000037B8: DBFE0000 4800001C
	ds_read_b128 a[76:79], v29                                 // 0000000037C0: DBFE0000 4C00001D
	v_mov_b32_e32 v213, v60                                    // 0000000037C8: 7FAA033C
	v_max3_f32 v213, v60, v61, v213                            // 0000000037CC: D1D300D5 07567B3C
	v_max3_f32 v213, v62, v63, v213                            // 0000000037D4: D1D300D5 07567F3E
	v_max3_f32 v213, v64, v65, v213                            // 0000000037DC: D1D300D5 07568340
	v_max3_f32 v213, v66, v67, v213                            // 0000000037E4: D1D300D5 07568742
	v_max3_f32 v213, v68, v69, v213                            // 0000000037EC: D1D300D5 07568B44
	v_max3_f32 v213, v70, v71, v213                            // 0000000037F4: D1D300D5 07568F46
	v_max3_f32 v213, v72, v73, v213                            // 0000000037FC: D1D300D5 07569348
	v_max3_f32 v213, v74, v75, v213                            // 000000003804: D1D300D5 0756974A
	v_mov_b32_e32 v35, v213                                    // 00000000380C: 7E4603D5
	v_mov_b32_e32 v36, v213                                    // 000000003810: 7E4803D5
	s_nop 0                                                    // 000000003814: BF800000
	v_mfma_f32_32x32x64_f8f6f4 v[92:107], a[80:87], v[44:51], v[92:107]// 000000003818: D3AE005C 0D725950
	v_permlane32_swap_b32_e32 v35, v36                         // 000000003820: 7E46B524
	v_max3_f32 v213, v35, v36, v213                            // 000000003824: D1D300D5 07564923
	ds_write_b32 v41, v213                                     // 00000000382C: D81A0000 0000D529
	s_mov_b32 s56, 0xb000                                      // 000000003834: BEB800FF 0000B000
	s_mul_i32 s57, s7, 0x2400                                  // 00000000383C: 9239FF07 00002400
	s_add_u32 m0, s56, s57                                     // 000000003844: 807C3938
	buffer_load_dwordx4 v217, s[20:23], 0 offen lds            // 000000003848: E05D1000 800500D9
	s_add_i32 m0, m0, 0x3c0                                    // 000000003850: 817CFF7C 000003C0
	buffer_load_dwordx4 v217, s[20:23], 0 offen offset:64 lds  // 000000003858: E05D1040 800500D9
	s_add_i32 m0, m0, 0x3c0                                    // 000000003860: 817CFF7C 000003C0
	s_waitcnt lgkmcnt(0)                                       // 000000003868: BF8CC07F
	s_barrier                                                  // 00000000386C: BF8A0000
	v_mfma_f32_32x32x64_f8f6f4 v[108:123], a[88:95], v[44:51], v[108:123]// 000000003870: D3AE006C 0DB25958
	ds_read_b32 v35, v40                                       // 000000003878: D86C0000 23000028
	ds_read_b32 v36, v40 offset:256                            // 000000003880: D86C0100 24000028
	s_waitcnt lgkmcnt(0)                                       // 000000003888: BF8CC07F
	v_max3_f32 v213, v35, v36, v213                            // 00000000388C: D1D300D5 07564923
	v_mov_b32_e32 v35, 0xff800000                              // 000000003894: 7E4602FF FF800000
	v_cmp_eq_u32_e64 s[36:37], v35, v2                         // 00000000389C: D0CA0024 00020523
	v_max_f32_e32 v216, v213, v2                               // 0000000038A4: 17B005D5
	v_sub_f32_e32 v21, v2, v216                                // 0000000038A8: 042BB102
	v_cndmask_b32_e64 v21, v21, 0, s[36:37]                    // 0000000038AC: D1000015 00910115
	v_mfma_f32_32x32x64_f8f6f4 v[124:139], a[96:103], v[44:51], v[124:139]// 0000000038B4: D3AE007C 0DF25960
	buffer_load_dwordx4 v217, s[20:23], 0 offen offset:128 lds // 0000000038BC: E05D1080 800500D9
	s_add_i32 m0, m0, 0x3c0                                    // 0000000038C4: 817CFF7C 000003C0
	v_mov_b32_e32 v2, v216                                     // 0000000038CC: 7E0403D8
	v_mul_f32_e32 v212, s5, v216                               // 0000000038D0: 0BA9B005
	v_mul_f32_e32 v21, s5, v21                                 // 0000000038D4: 0A2A2A05
	v_exp_f32_e32 v21, v21                                     // 0000000038D8: 7E2A4115
	v_fma_f32 v60, v60, s5, -v212                              // 0000000038DC: D1CB003C 87500B3C
	v_fma_f32 v61, v61, s5, -v212                              // 0000000038E4: D1CB003D 87500B3D
	v_fma_f32 v62, v62, s5, -v212                              // 0000000038EC: D1CB003E 87500B3E
	v_fma_f32 v63, v63, s5, -v212                              // 0000000038F4: D1CB003F 87500B3F
	v_fma_f32 v64, v64, s5, -v212                              // 0000000038FC: D1CB0040 87500B40
	v_fma_f32 v65, v65, s5, -v212                              // 000000003904: D1CB0041 87500B41
	v_fma_f32 v66, v66, s5, -v212                              // 00000000390C: D1CB0042 87500B42
	v_fma_f32 v67, v67, s5, -v212                              // 000000003914: D1CB0043 87500B43
	v_fma_f32 v68, v68, s5, -v212                              // 00000000391C: D1CB0044 87500B44
	v_mfma_f32_32x32x64_f8f6f4 v[140:155], a[104:111], v[44:51], v[140:155]// 000000003924: D3AE008C 0E325968
	ds_read_b128 a[80:83], v28 offset:1024                     // 00000000392C: DBFE0400 5000001C
	ds_read_b128 a[84:87], v29 offset:1024                     // 000000003934: DBFE0400 5400001D
	ds_read_b128 a[88:91], v28 offset:2048                     // 00000000393C: DBFE0800 5800001C
	ds_read_b128 a[92:95], v29 offset:2048                     // 000000003944: DBFE0800 5C00001D
	ds_read_b128 a[96:99], v28 offset:3072                     // 00000000394C: DBFE0C00 6000001C
	ds_read_b128 a[100:103], v29 offset:3072                   // 000000003954: DBFE0C00 6400001D
	v_fma_f32 v69, v69, s5, -v212                              // 00000000395C: D1CB0045 87500B45
	v_fma_f32 v70, v70, s5, -v212                              // 000000003964: D1CB0046 87500B46
	v_fma_f32 v71, v71, s5, -v212                              // 00000000396C: D1CB0047 87500B47
	v_fma_f32 v72, v72, s5, -v212                              // 000000003974: D1CB0048 87500B48
	v_fma_f32 v73, v73, s5, -v212                              // 00000000397C: D1CB0049 87500B49
	v_fma_f32 v74, v74, s5, -v212                              // 000000003984: D1CB004A 87500B4A
	v_fma_f32 v75, v75, s5, -v212                              // 00000000398C: D1CB004B 87500B4B
	v_exp_f32_e32 v60, v60                                     // 000000003994: 7E78413C
	v_exp_f32_e32 v61, v61                                     // 000000003998: 7E7A413D
	v_mfma_f32_32x32x64_f8f6f4 v[156:171], a[112:119], v[44:51], v[156:171]// 00000000399C: D3AE009C 0E725970
	buffer_load_dwordx4 v217, s[20:23], 0 offen offset:192 lds // 0000000039A4: E05D10C0 800500D9
	s_add_i32 m0, m0, 0x3c0                                    // 0000000039AC: 817CFF7C 000003C0
	v_exp_f32_e32 v62, v62                                     // 0000000039B4: 7E7C413E
	v_exp_f32_e32 v63, v63                                     // 0000000039B8: 7E7E413F
	v_exp_f32_e32 v64, v64                                     // 0000000039BC: 7E804140
	v_exp_f32_e32 v65, v65                                     // 0000000039C0: 7E824141
	v_exp_f32_e32 v66, v66                                     // 0000000039C4: 7E844142
	v_exp_f32_e32 v67, v67                                     // 0000000039C8: 7E864143
	v_exp_f32_e32 v68, v68                                     // 0000000039CC: 7E884144
	v_mfma_f32_32x32x64_f8f6f4 v[172:187], a[120:127], v[44:51], v[172:187]// 0000000039D0: D3AE00AC 0EB25978
	ds_read_b128 a[104:107], v28 offset:4096                   // 0000000039D8: DBFE1000 6800001C
	ds_read_b128 a[108:111], v29 offset:4096                   // 0000000039E0: DBFE1000 6C00001D
	ds_read_b128 a[112:115], v28 offset:5120                   // 0000000039E8: DBFE1400 7000001C
	ds_read_b128 a[116:119], v29 offset:5120                   // 0000000039F0: DBFE1400 7400001D
	ds_read_b128 a[120:123], v28 offset:6144                   // 0000000039F8: DBFE1800 7800001C
	ds_read_b128 a[124:127], v29 offset:6144                   // 000000003A00: DBFE1800 7C00001D
	v_exp_f32_e32 v69, v69                                     // 000000003A08: 7E8A4145
	v_exp_f32_e32 v70, v70                                     // 000000003A0C: 7E8C4146
	v_exp_f32_e32 v71, v71                                     // 000000003A10: 7E8E4147
	v_exp_f32_e32 v72, v72                                     // 000000003A14: 7E904148
	v_exp_f32_e32 v73, v73                                     // 000000003A18: 7E924149
	v_mfma_f32_32x32x64_f8f6f4 v[188:203], a[128:135], v[44:51], v[188:203]// 000000003A1C: D3AE00BC 0EF25980
	ds_read_b128 a[128:131], v28 offset:7168                   // 000000003A24: DBFE1C00 8000001C
	ds_read_b128 a[132:135], v29 offset:7168                   // 000000003A2C: DBFE1C00 8400001D
	ds_read_b128 a[136:139], v28 offset:8192                   // 000000003A34: DBFE2000 8800001C
	ds_read_b128 a[140:143], v29 offset:8192                   // 000000003A3C: DBFE2000 8C00001D
	v_exp_f32_e32 v74, v74                                     // 000000003A44: 7E94414A
	v_exp_f32_e32 v75, v75                                     // 000000003A48: 7E96414B
	v_mul_f32_e32 v4, v21, v4                                  // 000000003A4C: 0A080915
	v_mov_b32_e32 v35, v60                                     // 000000003A50: 7E46033C
	v_add_f32_e32 v35, v61, v35                                // 000000003A54: 0246473D
	v_add_f32_e32 v35, v62, v35                                // 000000003A58: 0246473E
	v_add_f32_e32 v35, v63, v35                                // 000000003A5C: 0246473F
	v_add_f32_e32 v35, v64, v35                                // 000000003A60: 02464740
	v_add_f32_e32 v35, v65, v35                                // 000000003A64: 02464741
	v_add_f32_e32 v35, v66, v35                                // 000000003A68: 02464742
	v_add_f32_e32 v35, v67, v35                                // 000000003A6C: 02464743
	v_add_f32_e32 v35, v68, v35                                // 000000003A70: 02464744
	v_add_f32_e32 v35, v69, v35                                // 000000003A74: 02464745
	v_add_f32_e32 v35, v70, v35                                // 000000003A78: 02464746
	v_add_f32_e32 v35, v71, v35                                // 000000003A7C: 02464747
	v_add_f32_e32 v35, v72, v35                                // 000000003A80: 02464748
	v_add_f32_e32 v35, v73, v35                                // 000000003A84: 02464749
	v_add_f32_e32 v35, v74, v35                                // 000000003A88: 0246474A
	v_add_f32_e32 v35, v75, v35                                // 000000003A8C: 0246474B
	v_add_f32_e32 v4, v35, v4                                  // 000000003A90: 02080923
	v_cvt_pk_fp8_f32 v60, v60, v61                             // 000000003A94: D2A2003C 00027B3C
	v_cvt_pk_fp8_f32 v60, v62, v63 op_sel:[0,0,1]              // 000000003A9C: D2A2403C 00027F3E
	v_cvt_pk_fp8_f32 v61, v64, v65                             // 000000003AA4: D2A2003D 00028340
	v_cvt_pk_fp8_f32 v61, v66, v67 op_sel:[0,0,1]              // 000000003AAC: D2A2403D 00028742
	v_cvt_pk_fp8_f32 v62, v68, v69                             // 000000003AB4: D2A2003E 00028B44
	v_cvt_pk_fp8_f32 v62, v70, v71 op_sel:[0,0,1]              // 000000003ABC: D2A2403E 00028F46
	v_cvt_pk_fp8_f32 v63, v72, v73                             // 000000003AC4: D2A2003F 00029348
	v_cvt_pk_fp8_f32 v63, v74, v75 op_sel:[0,0,1]              // 000000003ACC: D2A2403F 0002974A
	s_waitcnt lgkmcnt(8)                                       // 000000003AD4: BF8CC87F
	v_mfma_f32_32x32x64_f8f6f4 v[44:59], a[72:79], a[0:7], 0   // 000000003AD8: D3AE002C 1A020148
	ds_write_b128 v43, v[60:63] offset:1024                    // 000000003AE0: D9BE0400 00003C2B
	buffer_load_dword v32, v34, s[24:27], 0 offen              // 000000003AE8: E0501000 80062022
	buffer_load_dwordx4 v217, s[20:23], 0 offen offset:256 lds // 000000003AF0: E05D1100 800500D9
	s_add_i32 m0, m0, 0x3c0                                    // 000000003AF8: 817CFF7C 000003C0
	v_mul_f32_e32 v76, v21, v76                                // 000000003B00: 0A989915
	v_mul_f32_e32 v77, v21, v77                                // 000000003B04: 0A9A9B15
	v_mul_f32_e32 v78, v21, v78                                // 000000003B08: 0A9C9D15
	v_mul_f32_e32 v79, v21, v79                                // 000000003B0C: 0A9E9F15
	v_mul_f32_e32 v80, v21, v80                                // 000000003B10: 0AA0A115
	v_mul_f32_e32 v81, v21, v81                                // 000000003B14: 0AA2A315
	v_mul_f32_e32 v82, v21, v82                                // 000000003B18: 0AA4A515
	v_mul_f32_e32 v83, v21, v83                                // 000000003B1C: 0AA6A715
	v_mul_f32_e32 v84, v21, v84                                // 000000003B20: 0AA8A915
	v_mfma_f32_32x32x64_f8f6f4 v[44:59], a[80:87], a[8:15], v[44:59]// 000000003B24: D3AE002C 1CB21150
	ds_read_b64_tr_b8 a[72:73], v13                            // 000000003B2C: DBC40000 4800000D
	ds_read_b64_tr_b8 a[74:75], v14                            // 000000003B34: DBC40000 4A00000E
	ds_read_b64_tr_b8 a[76:77], v13 offset:18432               // 000000003B3C: DBC44800 4C00000D
	ds_read_b64_tr_b8 a[78:79], v14 offset:18432               // 000000003B44: DBC44800 4E00000E
	ds_read_b64_tr_b8 a[80:81], v15                            // 000000003B4C: DBC40000 5000000F
	ds_read_b64_tr_b8 a[82:83], v16                            // 000000003B54: DBC40000 52000010
	ds_read_b64_tr_b8 a[84:85], v15 offset:18432               // 000000003B5C: DBC44800 5400000F
	ds_read_b64_tr_b8 a[86:87], v16 offset:18432               // 000000003B64: DBC44800 56000010
	v_mul_f32_e32 v85, v21, v85                                // 000000003B6C: 0AAAAB15
	v_mul_f32_e32 v86, v21, v86                                // 000000003B70: 0AACAD15
	v_mul_f32_e32 v87, v21, v87                                // 000000003B74: 0AAEAF15
	v_mul_f32_e32 v88, v21, v88                                // 000000003B78: 0AB0B115
	v_mul_f32_e32 v89, v21, v89                                // 000000003B7C: 0AB2B315
	v_mul_f32_e32 v90, v21, v90                                // 000000003B80: 0AB4B515
	v_mul_f32_e32 v91, v21, v91                                // 000000003B84: 0AB6B715
	v_mul_f32_e32 v92, v21, v92                                // 000000003B88: 0AB8B915
	v_mul_f32_e32 v93, v21, v93                                // 000000003B8C: 0ABABB15
	v_mul_f32_e32 v94, v21, v94                                // 000000003B90: 0ABCBD15
	v_mul_f32_e32 v95, v21, v95                                // 000000003B94: 0ABEBF15
	v_mul_f32_e32 v96, v21, v96                                // 000000003B98: 0AC0C115
	s_waitcnt lgkmcnt(0)                                       // 000000003B9C: BF8CC07F
	s_barrier                                                  // 000000003BA0: BF8A0000
	v_mfma_f32_32x32x64_f8f6f4 v[44:59], a[88:95], a[16:23], v[44:59]// 000000003BA4: D3AE002C 1CB22158
	ds_read_b128 v[60:63], v42 offset:1024                     // 000000003BAC: D9FE0400 3C00002A
	ds_read_b128 v[64:67], v42 offset:2048                     // 000000003BB4: D9FE0800 4000002A
	buffer_load_dwordx4 v217, s[20:23], 0 offen offset:320 lds // 000000003BBC: E05D1140 800500D9
	s_add_i32 m0, m0, 0x3c0                                    // 000000003BC4: 817CFF7C 000003C0
	v_mul_f32_e32 v97, v21, v97                                // 000000003BCC: 0AC2C315
	v_mul_f32_e32 v98, v21, v98                                // 000000003BD0: 0AC4C515
	v_mul_f32_e32 v99, v21, v99                                // 000000003BD4: 0AC6C715
	v_mul_f32_e32 v100, v21, v100                              // 000000003BD8: 0AC8C915
	v_mul_f32_e32 v101, v21, v101                              // 000000003BDC: 0ACACB15
	v_mul_f32_e32 v102, v21, v102                              // 000000003BE0: 0ACCCD15
	v_mul_f32_e32 v103, v21, v103                              // 000000003BE4: 0ACECF15
	v_mul_f32_e32 v104, v21, v104                              // 000000003BE8: 0AD0D115
	v_mul_f32_e32 v105, v21, v105                              // 000000003BEC: 0AD2D315
	v_mul_f32_e32 v106, v21, v106                              // 000000003BF0: 0AD4D515
	v_mul_f32_e32 v107, v21, v107                              // 000000003BF4: 0AD6D715
	v_mul_f32_e32 v108, v21, v108                              // 000000003BF8: 0AD8D915
	v_add_u32_e32 v34, s73, v34                                // 000000003BFC: 68444449
	v_mfma_f32_32x32x64_f8f6f4 v[44:59], a[96:103], a[24:31], v[44:59]// 000000003C00: D3AE002C 1CB23160
	ds_read_b64_tr_b8 a[88:89], v13 offset:1024                // 000000003C08: DBC40400 5800000D
	ds_read_b64_tr_b8 a[90:91], v14 offset:1024                // 000000003C10: DBC40400 5A00000E
	ds_read_b64_tr_b8 a[92:93], v13 offset:19456               // 000000003C18: DBC44C00 5C00000D
	ds_read_b64_tr_b8 a[94:95], v14 offset:19456               // 000000003C20: DBC44C00 5E00000E
	ds_read_b64_tr_b8 a[96:97], v15 offset:1024                // 000000003C28: DBC40400 6000000F
	ds_read_b64_tr_b8 a[98:99], v16 offset:1024                // 000000003C30: DBC40400 62000010
	ds_read_b64_tr_b8 a[100:101], v15 offset:19456             // 000000003C38: DBC44C00 6400000F
	ds_read_b64_tr_b8 a[102:103], v16 offset:19456             // 000000003C40: DBC44C00 66000010
	v_mul_f32_e32 v109, v21, v109                              // 000000003C48: 0ADADB15
	v_mul_f32_e32 v110, v21, v110                              // 000000003C4C: 0ADCDD15
	v_mul_f32_e32 v111, v21, v111                              // 000000003C50: 0ADEDF15
	v_mul_f32_e32 v112, v21, v112                              // 000000003C54: 0AE0E115
	v_mul_f32_e32 v113, v21, v113                              // 000000003C58: 0AE2E315
	v_mul_f32_e32 v114, v21, v114                              // 000000003C5C: 0AE4E515
	v_mul_f32_e32 v115, v21, v115                              // 000000003C60: 0AE6E715
	v_mul_f32_e32 v116, v21, v116                              // 000000003C64: 0AE8E915
	v_mul_f32_e32 v117, v21, v117                              // 000000003C68: 0AEAEB15
	v_mul_f32_e32 v118, v21, v118                              // 000000003C6C: 0AECED15
	v_mul_f32_e32 v119, v21, v119                              // 000000003C70: 0AEEEF15
	v_mul_f32_e32 v120, v21, v120                              // 000000003C74: 0AF0F115
	v_mfma_f32_32x32x64_f8f6f4 v[44:59], a[104:111], a[32:39], v[44:59]// 000000003C78: D3AE002C 1CB24168
	buffer_load_dwordx4 v217, s[20:23], 0 offen offset:384 lds // 000000003C80: E05D1180 800500D9
	s_add_i32 m0, m0, 0x3c0                                    // 000000003C88: 817CFF7C 000003C0
	v_mul_f32_e32 v121, v21, v121                              // 000000003C90: 0AF2F315
	v_mul_f32_e32 v122, v21, v122                              // 000000003C94: 0AF4F515
	v_mul_f32_e32 v123, v21, v123                              // 000000003C98: 0AF6F715
	v_mul_f32_e32 v124, v21, v124                              // 000000003C9C: 0AF8F915
	v_mul_f32_e32 v125, v21, v125                              // 000000003CA0: 0AFAFB15
	v_mul_f32_e32 v126, v21, v126                              // 000000003CA4: 0AFCFD15
	v_mul_f32_e32 v127, v21, v127                              // 000000003CA8: 0AFEFF15
	v_mul_f32_e32 v128, v21, v128                              // 000000003CAC: 0B010115
	v_mul_f32_e32 v129, v21, v129                              // 000000003CB0: 0B030315
	v_mul_f32_e32 v130, v21, v130                              // 000000003CB4: 0B050515
	v_mul_f32_e32 v131, v21, v131                              // 000000003CB8: 0B070715
	v_mul_f32_e32 v132, v21, v132                              // 000000003CBC: 0B090915
	v_mfma_f32_32x32x64_f8f6f4 v[44:59], a[112:119], a[40:47], v[44:59]// 000000003CC0: D3AE002C 1CB25170
	s_waitcnt lgkmcnt(0)                                       // 000000003CC8: BF8CC07F
	ds_read_b64_tr_b8 a[104:105], v13 offset:2048              // 000000003CCC: DBC40800 6800000D
	ds_read_b64_tr_b8 a[106:107], v14 offset:2048              // 000000003CD4: DBC40800 6A00000E
	ds_read_b64_tr_b8 a[108:109], v13 offset:20480             // 000000003CDC: DBC45000 6C00000D
	ds_read_b64_tr_b8 a[110:111], v14 offset:20480             // 000000003CE4: DBC45000 6E00000E
	ds_read_b64_tr_b8 a[112:113], v15 offset:2048              // 000000003CEC: DBC40800 7000000F
	ds_read_b64_tr_b8 a[114:115], v16 offset:2048              // 000000003CF4: DBC40800 72000010
	ds_read_b64_tr_b8 a[116:117], v15 offset:20480             // 000000003CFC: DBC45000 7400000F
	ds_read_b64_tr_b8 a[118:119], v16 offset:20480             // 000000003D04: DBC45000 76000010
	v_mul_f32_e32 v133, v21, v133                              // 000000003D0C: 0B0B0B15
	v_mul_f32_e32 v134, v21, v134                              // 000000003D10: 0B0D0D15
	v_mul_f32_e32 v135, v21, v135                              // 000000003D14: 0B0F0F15
	v_mul_f32_e32 v136, v21, v136                              // 000000003D18: 0B111115
	v_mul_f32_e32 v137, v21, v137                              // 000000003D1C: 0B131315
	v_mul_f32_e32 v138, v21, v138                              // 000000003D20: 0B151515
	v_mul_f32_e32 v139, v21, v139                              // 000000003D24: 0B171715
	v_mfma_f32_32x32x64_f8f6f4 v[44:59], a[120:127], a[48:55], v[44:59]// 000000003D28: D3AE002C 1CB26178
	buffer_load_dwordx4 v217, s[20:23], 0 offen offset:448 lds // 000000003D30: E05D11C0 800500D9
	s_add_i32 m0, m0, 0x3c0                                    // 000000003D38: 817CFF7C 000003C0
	v_permlane32_swap_b32_e32 v60, v62                         // 000000003D40: 7E78B53E
	v_permlane32_swap_b32_e32 v61, v63                         // 000000003D44: 7E7AB53F
	v_swap_b32 v61, v62                                        // 000000003D48: 7E7AA33E
	v_permlane32_swap_b32_e32 v64, v66                         // 000000003D4C: 7E80B542
	v_permlane32_swap_b32_e32 v65, v67                         // 000000003D50: 7E82B543
	v_swap_b32 v65, v66                                        // 000000003D54: 7E82A342
	v_mfma_f32_32x32x64_f8f6f4 v[44:59], a[128:135], a[56:63], v[44:59]// 000000003D58: D3AE002C 1CB27180
	ds_read_b64_tr_b8 a[120:121], v13 offset:3072              // 000000003D60: DBC40C00 7800000D
	ds_read_b64_tr_b8 a[122:123], v14 offset:3072              // 000000003D68: DBC40C00 7A00000E
	ds_read_b64_tr_b8 a[124:125], v13 offset:21504             // 000000003D70: DBC45400 7C00000D
	ds_read_b64_tr_b8 a[126:127], v14 offset:21504             // 000000003D78: DBC45400 7E00000E
	ds_read_b64_tr_b8 a[128:129], v15 offset:3072              // 000000003D80: DBC40C00 8000000F
	ds_read_b64_tr_b8 a[130:131], v16 offset:3072              // 000000003D88: DBC40C00 82000010
	ds_read_b64_tr_b8 a[132:133], v15 offset:21504             // 000000003D90: DBC45400 8400000F
	ds_read_b64_tr_b8 a[134:135], v16 offset:21504             // 000000003D98: DBC45400 86000010
	v_mov_b32_e32 v36, v21                                     // 000000003DA0: 7E480315
	v_mov_b32_e32 v37, v21                                     // 000000003DA4: 7E4A0315
	v_pk_mul_f32 v[140:141], v[36:37], v[140:141]              // 000000003DA8: D3B1408C 18031924
	v_pk_mul_f32 v[142:143], v[36:37], v[142:143]              // 000000003DB0: D3B1408E 18031D24
	v_pk_mul_f32 v[144:145], v[36:37], v[144:145]              // 000000003DB8: D3B14090 18032124
	v_pk_mul_f32 v[146:147], v[36:37], v[146:147]              // 000000003DC0: D3B14092 18032524
	v_pk_mul_f32 v[148:149], v[36:37], v[148:149]              // 000000003DC8: D3B14094 18032924
	v_pk_mul_f32 v[150:151], v[36:37], v[150:151]              // 000000003DD0: D3B14096 18032D24
	v_pk_mul_f32 v[152:153], v[36:37], v[152:153]              // 000000003DD8: D3B14098 18033124
	v_pk_mul_f32 v[154:155], v[36:37], v[154:155]              // 000000003DE0: D3B1409A 18033524
	v_pk_mul_f32 v[156:157], v[36:37], v[156:157]              // 000000003DE8: D3B1409C 18033924
	v_pk_mul_f32 v[158:159], v[36:37], v[158:159]              // 000000003DF0: D3B1409E 18033D24
	v_pk_mul_f32 v[160:161], v[36:37], v[160:161]              // 000000003DF8: D3B140A0 18034124
	v_pk_mul_f32 v[162:163], v[36:37], v[162:163]              // 000000003E00: D3B140A2 18034524
	v_pk_mul_f32 v[164:165], v[36:37], v[164:165]              // 000000003E08: D3B140A4 18034924
	v_pk_mul_f32 v[166:167], v[36:37], v[166:167]              // 000000003E10: D3B140A6 18034D24
	v_pk_mul_f32 v[168:169], v[36:37], v[168:169]              // 000000003E18: D3B140A8 18035124
	v_pk_mul_f32 v[170:171], v[36:37], v[170:171]              // 000000003E20: D3B140AA 18035524
	v_pk_mul_f32 v[172:173], v[36:37], v[172:173]              // 000000003E28: D3B140AC 18035924
	v_pk_mul_f32 v[174:175], v[36:37], v[174:175]              // 000000003E30: D3B140AE 18035D24
	v_pk_mul_f32 v[176:177], v[36:37], v[176:177]              // 000000003E38: D3B140B0 18036124
	v_pk_mul_f32 v[178:179], v[36:37], v[178:179]              // 000000003E40: D3B140B2 18036524
	v_pk_mul_f32 v[180:181], v[36:37], v[180:181]              // 000000003E48: D3B140B4 18036924
	v_pk_mul_f32 v[182:183], v[36:37], v[182:183]              // 000000003E50: D3B140B6 18036D24
	v_pk_mul_f32 v[184:185], v[36:37], v[184:185]              // 000000003E58: D3B140B8 18037124
	v_pk_mul_f32 v[186:187], v[36:37], v[186:187]              // 000000003E60: D3B140BA 18037524
	v_pk_mul_f32 v[188:189], v[36:37], v[188:189]              // 000000003E68: D3B140BC 18037924
	v_pk_mul_f32 v[190:191], v[36:37], v[190:191]              // 000000003E70: D3B140BE 18037D24
	v_pk_mul_f32 v[192:193], v[36:37], v[192:193]              // 000000003E78: D3B140C0 18038124
	v_pk_mul_f32 v[194:195], v[36:37], v[194:195]              // 000000003E80: D3B140C2 18038524
	v_pk_mul_f32 v[196:197], v[36:37], v[196:197]              // 000000003E88: D3B140C4 18038924
	v_pk_mul_f32 v[198:199], v[36:37], v[198:199]              // 000000003E90: D3B140C6 18038D24
	v_pk_mul_f32 v[200:201], v[36:37], v[200:201]              // 000000003E98: D3B140C8 18039124
	v_pk_mul_f32 v[202:203], v[36:37], v[202:203]              // 000000003EA0: D3B140CA 18039524
	v_mfma_f32_32x32x64_f8f6f4 v[44:59], a[136:143], a[64:71], v[44:59]// 000000003EA8: D3AE002C 1CB28188
	buffer_load_dwordx4 v217, s[20:23], 0 offen offset:512 lds // 000000003EB0: E05D1200 800500D9
	s_add_i32 m0, m0, 0x3c0                                    // 000000003EB8: 817CFF7C 000003C0
	s_addk_i32 s70, 0x1                                        // 000000003EC0: B7460001
	s_cmp_lt_i32 s70, s71                                      // 000000003EC4: BF044746
	s_cbranch_scc0 label_316C                                  // 000000003EC8: BF840568
	v_mul_u32_u24_e64 v217, v31, s68                           // 000000003ECC: D10800D9 0000891F
	v_add_u32_e32 v217, v217, v1                               // 000000003ED4: 69B203D9
	s_waitcnt vmcnt(10)                                        // 000000003ED8: BF8C0F7A
	s_barrier                                                  // 000000003EDC: BF8A0000
	s_waitcnt lgkmcnt(8)                                       // 000000003EE0: BF8CC87F
	v_mfma_f32_32x32x64_f8f6f4 v[76:91], a[72:79], v[60:67], v[76:91]// 000000003EE4: D3AE004C 0D327948
	ds_read_b128 a[72:75], v22                                 // 000000003EEC: DBFE0000 48000016
	ds_read_b128 a[76:79], v23                                 // 000000003EF4: DBFE0000 4C000017
	v_mov_b32_e32 v213, v44                                    // 000000003EFC: 7FAA032C
	v_max3_f32 v213, v44, v45, v213                            // 000000003F00: D1D300D5 07565B2C
	v_max3_f32 v213, v46, v47, v213                            // 000000003F08: D1D300D5 07565F2E
	v_max3_f32 v213, v48, v49, v213                            // 000000003F10: D1D300D5 07566330
	v_max3_f32 v213, v50, v51, v213                            // 000000003F18: D1D300D5 07566732
	v_max3_f32 v213, v52, v53, v213                            // 000000003F20: D1D300D5 07566B34
	v_max3_f32 v213, v54, v55, v213                            // 000000003F28: D1D300D5 07566F36
	v_max3_f32 v213, v56, v57, v213                            // 000000003F30: D1D300D5 07567338
	v_max3_f32 v213, v58, v59, v213                            // 000000003F38: D1D300D5 0756773A
	v_mov_b32_e32 v35, v213                                    // 000000003F40: 7E4603D5
	v_mov_b32_e32 v36, v213                                    // 000000003F44: 7E4803D5
	s_nop 0                                                    // 000000003F48: BF800000
	v_mfma_f32_32x32x64_f8f6f4 v[92:107], a[80:87], v[60:67], v[92:107]// 000000003F4C: D3AE005C 0D727950
	v_permlane32_swap_b32_e32 v35, v36                         // 000000003F54: 7E46B524
	v_max3_f32 v213, v35, v36, v213                            // 000000003F58: D1D300D5 07564923
	ds_write_b32 v41, v213                                     // 000000003F60: D81A0000 0000D529
	s_mov_b32 s56, 0x14000                                     // 000000003F68: BEB800FF 00014000
	s_mul_i32 s57, s7, 0x2400                                  // 000000003F70: 9239FF07 00002400
	s_add_u32 m0, s56, s57                                     // 000000003F78: 807C3938
	buffer_load_dwordx4 v217, s[20:23], 0 offen lds            // 000000003F7C: E05D1000 800500D9
	s_add_i32 m0, m0, 0x3c0                                    // 000000003F84: 817CFF7C 000003C0
	buffer_load_dwordx4 v217, s[20:23], 0 offen offset:64 lds  // 000000003F8C: E05D1040 800500D9
	s_add_i32 m0, m0, 0x3c0                                    // 000000003F94: 817CFF7C 000003C0
	s_waitcnt lgkmcnt(0)                                       // 000000003F9C: BF8CC07F
	s_barrier                                                  // 000000003FA0: BF8A0000
	v_mfma_f32_32x32x64_f8f6f4 v[108:123], a[88:95], v[60:67], v[108:123]// 000000003FA4: D3AE006C 0DB27958
	ds_read_b32 v35, v40                                       // 000000003FAC: D86C0000 23000028
	ds_read_b32 v36, v40 offset:256                            // 000000003FB4: D86C0100 24000028
	s_waitcnt lgkmcnt(0)                                       // 000000003FBC: BF8CC07F
	v_max3_f32 v213, v35, v36, v213                            // 000000003FC0: D1D300D5 07564923
	v_mov_b32_e32 v35, 0xff800000                              // 000000003FC8: 7E4602FF FF800000
	v_cmp_eq_u32_e64 s[36:37], v35, v2                         // 000000003FD0: D0CA0024 00020523
	v_max_f32_e32 v216, v213, v2                               // 000000003FD8: 17B005D5
	v_sub_f32_e32 v21, v2, v216                                // 000000003FDC: 042BB102
	v_cndmask_b32_e64 v21, v21, 0, s[36:37]                    // 000000003FE0: D1000015 00910115
	v_mfma_f32_32x32x64_f8f6f4 v[124:139], a[96:103], v[60:67], v[124:139]// 000000003FE8: D3AE007C 0DF27960
	buffer_load_dwordx4 v217, s[20:23], 0 offen offset:128 lds // 000000003FF0: E05D1080 800500D9
	s_add_i32 m0, m0, 0x3c0                                    // 000000003FF8: 817CFF7C 000003C0
	v_mov_b32_e32 v2, v216                                     // 000000004000: 7E0403D8
	v_mul_f32_e32 v212, s5, v216                               // 000000004004: 0BA9B005
	v_mul_f32_e32 v21, s5, v21                                 // 000000004008: 0A2A2A05
	v_exp_f32_e32 v21, v21                                     // 00000000400C: 7E2A4115
	v_fma_f32 v44, v44, s5, -v212                              // 000000004010: D1CB002C 87500B2C
	v_fma_f32 v45, v45, s5, -v212                              // 000000004018: D1CB002D 87500B2D
	v_fma_f32 v46, v46, s5, -v212                              // 000000004020: D1CB002E 87500B2E
	v_fma_f32 v47, v47, s5, -v212                              // 000000004028: D1CB002F 87500B2F
	v_fma_f32 v48, v48, s5, -v212                              // 000000004030: D1CB0030 87500B30
	v_fma_f32 v49, v49, s5, -v212                              // 000000004038: D1CB0031 87500B31
	v_fma_f32 v50, v50, s5, -v212                              // 000000004040: D1CB0032 87500B32
	v_fma_f32 v51, v51, s5, -v212                              // 000000004048: D1CB0033 87500B33
	v_fma_f32 v52, v52, s5, -v212                              // 000000004050: D1CB0034 87500B34
	v_mfma_f32_32x32x64_f8f6f4 v[140:155], a[104:111], v[60:67], v[140:155]// 000000004058: D3AE008C 0E327968
	ds_read_b128 a[80:83], v22 offset:1024                     // 000000004060: DBFE0400 50000016
	ds_read_b128 a[84:87], v23 offset:1024                     // 000000004068: DBFE0400 54000017
	ds_read_b128 a[88:91], v22 offset:2048                     // 000000004070: DBFE0800 58000016
	ds_read_b128 a[92:95], v23 offset:2048                     // 000000004078: DBFE0800 5C000017
	ds_read_b128 a[96:99], v22 offset:3072                     // 000000004080: DBFE0C00 60000016
	ds_read_b128 a[100:103], v23 offset:3072                   // 000000004088: DBFE0C00 64000017
	v_fma_f32 v53, v53, s5, -v212                              // 000000004090: D1CB0035 87500B35
	v_fma_f32 v54, v54, s5, -v212                              // 000000004098: D1CB0036 87500B36
	v_fma_f32 v55, v55, s5, -v212                              // 0000000040A0: D1CB0037 87500B37
	v_fma_f32 v56, v56, s5, -v212                              // 0000000040A8: D1CB0038 87500B38
	v_fma_f32 v57, v57, s5, -v212                              // 0000000040B0: D1CB0039 87500B39
	v_fma_f32 v58, v58, s5, -v212                              // 0000000040B8: D1CB003A 87500B3A
	v_fma_f32 v59, v59, s5, -v212                              // 0000000040C0: D1CB003B 87500B3B
	v_exp_f32_e32 v44, v44                                     // 0000000040C8: 7E58412C
	v_exp_f32_e32 v45, v45                                     // 0000000040CC: 7E5A412D
	v_mfma_f32_32x32x64_f8f6f4 v[156:171], a[112:119], v[60:67], v[156:171]// 0000000040D0: D3AE009C 0E727970
	buffer_load_dwordx4 v217, s[20:23], 0 offen offset:192 lds // 0000000040D8: E05D10C0 800500D9
	s_add_i32 m0, m0, 0x3c0                                    // 0000000040E0: 817CFF7C 000003C0
	v_exp_f32_e32 v46, v46                                     // 0000000040E8: 7E5C412E
	v_exp_f32_e32 v47, v47                                     // 0000000040EC: 7E5E412F
	v_exp_f32_e32 v48, v48                                     // 0000000040F0: 7E604130
	v_exp_f32_e32 v49, v49                                     // 0000000040F4: 7E624131
	v_exp_f32_e32 v50, v50                                     // 0000000040F8: 7E644132
	v_exp_f32_e32 v51, v51                                     // 0000000040FC: 7E664133
	v_exp_f32_e32 v52, v52                                     // 000000004100: 7E684134
	v_mfma_f32_32x32x64_f8f6f4 v[172:187], a[120:127], v[60:67], v[172:187]// 000000004104: D3AE00AC 0EB27978
	ds_read_b128 a[104:107], v22 offset:4096                   // 00000000410C: DBFE1000 68000016
	ds_read_b128 a[108:111], v23 offset:4096                   // 000000004114: DBFE1000 6C000017
	ds_read_b128 a[112:115], v22 offset:5120                   // 00000000411C: DBFE1400 70000016
	ds_read_b128 a[116:119], v23 offset:5120                   // 000000004124: DBFE1400 74000017
	ds_read_b128 a[120:123], v22 offset:6144                   // 00000000412C: DBFE1800 78000016
	ds_read_b128 a[124:127], v23 offset:6144                   // 000000004134: DBFE1800 7C000017
	v_exp_f32_e32 v53, v53                                     // 00000000413C: 7E6A4135
	v_exp_f32_e32 v54, v54                                     // 000000004140: 7E6C4136
	v_exp_f32_e32 v55, v55                                     // 000000004144: 7E6E4137
	v_exp_f32_e32 v56, v56                                     // 000000004148: 7E704138
	v_exp_f32_e32 v57, v57                                     // 00000000414C: 7E724139
	v_mfma_f32_32x32x64_f8f6f4 v[188:203], a[128:135], v[60:67], v[188:203]// 000000004150: D3AE00BC 0EF27980
	ds_read_b128 a[128:131], v22 offset:7168                   // 000000004158: DBFE1C00 80000016
	ds_read_b128 a[132:135], v23 offset:7168                   // 000000004160: DBFE1C00 84000017
	ds_read_b128 a[136:139], v22 offset:8192                   // 000000004168: DBFE2000 88000016
	ds_read_b128 a[140:143], v23 offset:8192                   // 000000004170: DBFE2000 8C000017
	v_exp_f32_e32 v58, v58                                     // 000000004178: 7E74413A
	v_exp_f32_e32 v59, v59                                     // 00000000417C: 7E76413B
	v_mul_f32_e32 v4, v21, v4                                  // 000000004180: 0A080915
	v_mov_b32_e32 v35, v44                                     // 000000004184: 7E46032C
	v_add_f32_e32 v35, v45, v35                                // 000000004188: 0246472D
	v_add_f32_e32 v35, v46, v35                                // 00000000418C: 0246472E
	v_add_f32_e32 v35, v47, v35                                // 000000004190: 0246472F
	v_add_f32_e32 v35, v48, v35                                // 000000004194: 02464730
	v_add_f32_e32 v35, v49, v35                                // 000000004198: 02464731
	v_add_f32_e32 v35, v50, v35                                // 00000000419C: 02464732
	v_add_f32_e32 v35, v51, v35                                // 0000000041A0: 02464733
	v_add_f32_e32 v35, v52, v35                                // 0000000041A4: 02464734
	v_add_f32_e32 v35, v53, v35                                // 0000000041A8: 02464735
	v_add_f32_e32 v35, v54, v35                                // 0000000041AC: 02464736
	v_add_f32_e32 v35, v55, v35                                // 0000000041B0: 02464737
	v_add_f32_e32 v35, v56, v35                                // 0000000041B4: 02464738
	v_add_f32_e32 v35, v57, v35                                // 0000000041B8: 02464739
	v_add_f32_e32 v35, v58, v35                                // 0000000041BC: 0246473A
	v_add_f32_e32 v35, v59, v35                                // 0000000041C0: 0246473B
	v_add_f32_e32 v4, v35, v4                                  // 0000000041C4: 02080923
	v_cvt_pk_fp8_f32 v44, v44, v45                             // 0000000041C8: D2A2002C 00025B2C
	v_cvt_pk_fp8_f32 v44, v46, v47 op_sel:[0,0,1]              // 0000000041D0: D2A2402C 00025F2E
	v_cvt_pk_fp8_f32 v45, v48, v49                             // 0000000041D8: D2A2002D 00026330
	v_cvt_pk_fp8_f32 v45, v50, v51 op_sel:[0,0,1]              // 0000000041E0: D2A2402D 00026732
	v_cvt_pk_fp8_f32 v46, v52, v53                             // 0000000041E8: D2A2002E 00026B34
	v_cvt_pk_fp8_f32 v46, v54, v55 op_sel:[0,0,1]              // 0000000041F0: D2A2402E 00026F36
	v_cvt_pk_fp8_f32 v47, v56, v57                             // 0000000041F8: D2A2002F 00027338
	v_cvt_pk_fp8_f32 v47, v58, v59 op_sel:[0,0,1]              // 000000004200: D2A2402F 0002773A
	s_waitcnt lgkmcnt(8)                                       // 000000004208: BF8CC87F
	v_mfma_f32_32x32x64_f8f6f4 v[60:75], a[72:79], a[0:7], 0   // 00000000420C: D3AE003C 1A020148
	ds_write_b128 v43, v[44:47] offset:1024                    // 000000004214: D9BE0400 00002C2B
	buffer_load_dword v33, v34, s[24:27], 0 offen              // 00000000421C: E0501000 80062122
	buffer_load_dwordx4 v217, s[20:23], 0 offen offset:256 lds // 000000004224: E05D1100 800500D9
	s_add_i32 m0, m0, 0x3c0                                    // 00000000422C: 817CFF7C 000003C0
	v_mul_f32_e32 v76, v21, v76                                // 000000004234: 0A989915
	v_mul_f32_e32 v77, v21, v77                                // 000000004238: 0A9A9B15
	v_mul_f32_e32 v78, v21, v78                                // 00000000423C: 0A9C9D15
	v_mul_f32_e32 v79, v21, v79                                // 000000004240: 0A9E9F15
	v_mul_f32_e32 v80, v21, v80                                // 000000004244: 0AA0A115
	v_mul_f32_e32 v81, v21, v81                                // 000000004248: 0AA2A315
	v_mul_f32_e32 v82, v21, v82                                // 00000000424C: 0AA4A515
	v_mul_f32_e32 v83, v21, v83                                // 000000004250: 0AA6A715
	v_mul_f32_e32 v84, v21, v84                                // 000000004254: 0AA8A915
	v_mfma_f32_32x32x64_f8f6f4 v[60:75], a[80:87], a[8:15], v[60:75]// 000000004258: D3AE003C 1CF21150
	ds_read_b64_tr_b8 a[72:73], v17                            // 000000004260: DBC40000 48000011
	ds_read_b64_tr_b8 a[74:75], v18                            // 000000004268: DBC40000 4A000012
	ds_read_b64_tr_b8 a[76:77], v17 offset:18432               // 000000004270: DBC44800 4C000011
	ds_read_b64_tr_b8 a[78:79], v18 offset:18432               // 000000004278: DBC44800 4E000012
	ds_read_b64_tr_b8 a[80:81], v19                            // 000000004280: DBC40000 50000013
	ds_read_b64_tr_b8 a[82:83], v20                            // 000000004288: DBC40000 52000014
	ds_read_b64_tr_b8 a[84:85], v19 offset:18432               // 000000004290: DBC44800 54000013
	ds_read_b64_tr_b8 a[86:87], v20 offset:18432               // 000000004298: DBC44800 56000014
	v_mul_f32_e32 v85, v21, v85                                // 0000000042A0: 0AAAAB15
	v_mul_f32_e32 v86, v21, v86                                // 0000000042A4: 0AACAD15
	v_mul_f32_e32 v87, v21, v87                                // 0000000042A8: 0AAEAF15
	v_mul_f32_e32 v88, v21, v88                                // 0000000042AC: 0AB0B115
	v_mul_f32_e32 v89, v21, v89                                // 0000000042B0: 0AB2B315
	v_mul_f32_e32 v90, v21, v90                                // 0000000042B4: 0AB4B515
	v_mul_f32_e32 v91, v21, v91                                // 0000000042B8: 0AB6B715
	v_mul_f32_e32 v92, v21, v92                                // 0000000042BC: 0AB8B915
	v_mul_f32_e32 v93, v21, v93                                // 0000000042C0: 0ABABB15
	v_mul_f32_e32 v94, v21, v94                                // 0000000042C4: 0ABCBD15
	v_mul_f32_e32 v95, v21, v95                                // 0000000042C8: 0ABEBF15
	v_mul_f32_e32 v96, v21, v96                                // 0000000042CC: 0AC0C115
	s_waitcnt lgkmcnt(0)                                       // 0000000042D0: BF8CC07F
	s_barrier                                                  // 0000000042D4: BF8A0000
	v_mfma_f32_32x32x64_f8f6f4 v[60:75], a[88:95], a[16:23], v[60:75]// 0000000042D8: D3AE003C 1CF22158
	ds_read_b128 v[44:47], v42 offset:1024                     // 0000000042E0: D9FE0400 2C00002A
	ds_read_b128 v[48:51], v42 offset:2048                     // 0000000042E8: D9FE0800 3000002A
	buffer_load_dwordx4 v217, s[20:23], 0 offen offset:320 lds // 0000000042F0: E05D1140 800500D9
	s_add_i32 m0, m0, 0x3c0                                    // 0000000042F8: 817CFF7C 000003C0
	v_mul_f32_e32 v97, v21, v97                                // 000000004300: 0AC2C315
	v_mul_f32_e32 v98, v21, v98                                // 000000004304: 0AC4C515
	v_mul_f32_e32 v99, v21, v99                                // 000000004308: 0AC6C715
	v_mul_f32_e32 v100, v21, v100                              // 00000000430C: 0AC8C915
	v_mul_f32_e32 v101, v21, v101                              // 000000004310: 0ACACB15
	v_mul_f32_e32 v102, v21, v102                              // 000000004314: 0ACCCD15
	v_mul_f32_e32 v103, v21, v103                              // 000000004318: 0ACECF15
	v_mul_f32_e32 v104, v21, v104                              // 00000000431C: 0AD0D115
	v_mul_f32_e32 v105, v21, v105                              // 000000004320: 0AD2D315
	v_mul_f32_e32 v106, v21, v106                              // 000000004324: 0AD4D515
	v_mul_f32_e32 v107, v21, v107                              // 000000004328: 0AD6D715
	v_mul_f32_e32 v108, v21, v108                              // 00000000432C: 0AD8D915
	v_add_u32_e32 v34, s73, v34                                // 000000004330: 68444449
	v_mfma_f32_32x32x64_f8f6f4 v[60:75], a[96:103], a[24:31], v[60:75]// 000000004334: D3AE003C 1CF23160
	ds_read_b64_tr_b8 a[88:89], v17 offset:1024                // 00000000433C: DBC40400 58000011
	ds_read_b64_tr_b8 a[90:91], v18 offset:1024                // 000000004344: DBC40400 5A000012
	ds_read_b64_tr_b8 a[92:93], v17 offset:19456               // 00000000434C: DBC44C00 5C000011
	ds_read_b64_tr_b8 a[94:95], v18 offset:19456               // 000000004354: DBC44C00 5E000012
	ds_read_b64_tr_b8 a[96:97], v19 offset:1024                // 00000000435C: DBC40400 60000013
	ds_read_b64_tr_b8 a[98:99], v20 offset:1024                // 000000004364: DBC40400 62000014
	ds_read_b64_tr_b8 a[100:101], v19 offset:19456             // 00000000436C: DBC44C00 64000013
	ds_read_b64_tr_b8 a[102:103], v20 offset:19456             // 000000004374: DBC44C00 66000014
	v_mul_f32_e32 v109, v21, v109                              // 00000000437C: 0ADADB15
	v_mul_f32_e32 v110, v21, v110                              // 000000004380: 0ADCDD15
	v_mul_f32_e32 v111, v21, v111                              // 000000004384: 0ADEDF15
	v_mul_f32_e32 v112, v21, v112                              // 000000004388: 0AE0E115
	v_mul_f32_e32 v113, v21, v113                              // 00000000438C: 0AE2E315
	v_mul_f32_e32 v114, v21, v114                              // 000000004390: 0AE4E515
	v_mul_f32_e32 v115, v21, v115                              // 000000004394: 0AE6E715
	v_mul_f32_e32 v116, v21, v116                              // 000000004398: 0AE8E915
	v_mul_f32_e32 v117, v21, v117                              // 00000000439C: 0AEAEB15
	v_mul_f32_e32 v118, v21, v118                              // 0000000043A0: 0AECED15
	v_mul_f32_e32 v119, v21, v119                              // 0000000043A4: 0AEEEF15
	v_mul_f32_e32 v120, v21, v120                              // 0000000043A8: 0AF0F115
	v_mfma_f32_32x32x64_f8f6f4 v[60:75], a[104:111], a[32:39], v[60:75]// 0000000043AC: D3AE003C 1CF24168
	buffer_load_dwordx4 v217, s[20:23], 0 offen offset:384 lds // 0000000043B4: E05D1180 800500D9
	s_add_i32 m0, m0, 0x3c0                                    // 0000000043BC: 817CFF7C 000003C0
	v_mul_f32_e32 v121, v21, v121                              // 0000000043C4: 0AF2F315
	v_mul_f32_e32 v122, v21, v122                              // 0000000043C8: 0AF4F515
	v_mul_f32_e32 v123, v21, v123                              // 0000000043CC: 0AF6F715
	v_mul_f32_e32 v124, v21, v124                              // 0000000043D0: 0AF8F915
	v_mul_f32_e32 v125, v21, v125                              // 0000000043D4: 0AFAFB15
	v_mul_f32_e32 v126, v21, v126                              // 0000000043D8: 0AFCFD15
	v_mul_f32_e32 v127, v21, v127                              // 0000000043DC: 0AFEFF15
	v_mul_f32_e32 v128, v21, v128                              // 0000000043E0: 0B010115
	v_mul_f32_e32 v129, v21, v129                              // 0000000043E4: 0B030315
	v_mul_f32_e32 v130, v21, v130                              // 0000000043E8: 0B050515
	v_mul_f32_e32 v131, v21, v131                              // 0000000043EC: 0B070715
	v_mul_f32_e32 v132, v21, v132                              // 0000000043F0: 0B090915
	v_mfma_f32_32x32x64_f8f6f4 v[60:75], a[112:119], a[40:47], v[60:75]// 0000000043F4: D3AE003C 1CF25170
	s_waitcnt lgkmcnt(0)                                       // 0000000043FC: BF8CC07F
	ds_read_b64_tr_b8 a[104:105], v17 offset:2048              // 000000004400: DBC40800 68000011
	ds_read_b64_tr_b8 a[106:107], v18 offset:2048              // 000000004408: DBC40800 6A000012
	ds_read_b64_tr_b8 a[108:109], v17 offset:20480             // 000000004410: DBC45000 6C000011
	ds_read_b64_tr_b8 a[110:111], v18 offset:20480             // 000000004418: DBC45000 6E000012
	ds_read_b64_tr_b8 a[112:113], v19 offset:2048              // 000000004420: DBC40800 70000013
	ds_read_b64_tr_b8 a[114:115], v20 offset:2048              // 000000004428: DBC40800 72000014
	ds_read_b64_tr_b8 a[116:117], v19 offset:20480             // 000000004430: DBC45000 74000013
	ds_read_b64_tr_b8 a[118:119], v20 offset:20480             // 000000004438: DBC45000 76000014
	v_mul_f32_e32 v133, v21, v133                              // 000000004440: 0B0B0B15
	v_mul_f32_e32 v134, v21, v134                              // 000000004444: 0B0D0D15
	v_mul_f32_e32 v135, v21, v135                              // 000000004448: 0B0F0F15
	v_mul_f32_e32 v136, v21, v136                              // 00000000444C: 0B111115
	v_mul_f32_e32 v137, v21, v137                              // 000000004450: 0B131315
	v_mul_f32_e32 v138, v21, v138                              // 000000004454: 0B151515
	v_mul_f32_e32 v139, v21, v139                              // 000000004458: 0B171715
	v_mfma_f32_32x32x64_f8f6f4 v[60:75], a[120:127], a[48:55], v[60:75]// 00000000445C: D3AE003C 1CF26178
	buffer_load_dwordx4 v217, s[20:23], 0 offen offset:448 lds // 000000004464: E05D11C0 800500D9
	s_add_i32 m0, m0, 0x3c0                                    // 00000000446C: 817CFF7C 000003C0
	v_permlane32_swap_b32_e32 v44, v46                         // 000000004474: 7E58B52E
	v_permlane32_swap_b32_e32 v45, v47                         // 000000004478: 7E5AB52F
	v_swap_b32 v45, v46                                        // 00000000447C: 7E5AA32E
	v_permlane32_swap_b32_e32 v48, v50                         // 000000004480: 7E60B532
	v_permlane32_swap_b32_e32 v49, v51                         // 000000004484: 7E62B533
	v_swap_b32 v49, v50                                        // 000000004488: 7E62A332
	v_mfma_f32_32x32x64_f8f6f4 v[60:75], a[128:135], a[56:63], v[60:75]// 00000000448C: D3AE003C 1CF27180
	ds_read_b64_tr_b8 a[120:121], v17 offset:3072              // 000000004494: DBC40C00 78000011
	ds_read_b64_tr_b8 a[122:123], v18 offset:3072              // 00000000449C: DBC40C00 7A000012
	ds_read_b64_tr_b8 a[124:125], v17 offset:21504             // 0000000044A4: DBC45400 7C000011
	ds_read_b64_tr_b8 a[126:127], v18 offset:21504             // 0000000044AC: DBC45400 7E000012
	ds_read_b64_tr_b8 a[128:129], v19 offset:3072              // 0000000044B4: DBC40C00 80000013
	ds_read_b64_tr_b8 a[130:131], v20 offset:3072              // 0000000044BC: DBC40C00 82000014
	ds_read_b64_tr_b8 a[132:133], v19 offset:21504             // 0000000044C4: DBC45400 84000013
	ds_read_b64_tr_b8 a[134:135], v20 offset:21504             // 0000000044CC: DBC45400 86000014
	v_mov_b32_e32 v36, v21                                     // 0000000044D4: 7E480315
	v_mov_b32_e32 v37, v21                                     // 0000000044D8: 7E4A0315
	v_pk_mul_f32 v[140:141], v[36:37], v[140:141]              // 0000000044DC: D3B1408C 18031924
	v_pk_mul_f32 v[142:143], v[36:37], v[142:143]              // 0000000044E4: D3B1408E 18031D24
	v_pk_mul_f32 v[144:145], v[36:37], v[144:145]              // 0000000044EC: D3B14090 18032124
	v_pk_mul_f32 v[146:147], v[36:37], v[146:147]              // 0000000044F4: D3B14092 18032524
	v_pk_mul_f32 v[148:149], v[36:37], v[148:149]              // 0000000044FC: D3B14094 18032924
	v_pk_mul_f32 v[150:151], v[36:37], v[150:151]              // 000000004504: D3B14096 18032D24
	v_pk_mul_f32 v[152:153], v[36:37], v[152:153]              // 00000000450C: D3B14098 18033124
	v_pk_mul_f32 v[154:155], v[36:37], v[154:155]              // 000000004514: D3B1409A 18033524
	v_pk_mul_f32 v[156:157], v[36:37], v[156:157]              // 00000000451C: D3B1409C 18033924
	v_pk_mul_f32 v[158:159], v[36:37], v[158:159]              // 000000004524: D3B1409E 18033D24
	v_pk_mul_f32 v[160:161], v[36:37], v[160:161]              // 00000000452C: D3B140A0 18034124
	v_pk_mul_f32 v[162:163], v[36:37], v[162:163]              // 000000004534: D3B140A2 18034524
	v_pk_mul_f32 v[164:165], v[36:37], v[164:165]              // 00000000453C: D3B140A4 18034924
	v_pk_mul_f32 v[166:167], v[36:37], v[166:167]              // 000000004544: D3B140A6 18034D24
	v_pk_mul_f32 v[168:169], v[36:37], v[168:169]              // 00000000454C: D3B140A8 18035124
	v_pk_mul_f32 v[170:171], v[36:37], v[170:171]              // 000000004554: D3B140AA 18035524
	v_pk_mul_f32 v[172:173], v[36:37], v[172:173]              // 00000000455C: D3B140AC 18035924
	v_pk_mul_f32 v[174:175], v[36:37], v[174:175]              // 000000004564: D3B140AE 18035D24
	v_pk_mul_f32 v[176:177], v[36:37], v[176:177]              // 00000000456C: D3B140B0 18036124
	v_pk_mul_f32 v[178:179], v[36:37], v[178:179]              // 000000004574: D3B140B2 18036524
	v_pk_mul_f32 v[180:181], v[36:37], v[180:181]              // 00000000457C: D3B140B4 18036924
	v_pk_mul_f32 v[182:183], v[36:37], v[182:183]              // 000000004584: D3B140B6 18036D24
	v_pk_mul_f32 v[184:185], v[36:37], v[184:185]              // 00000000458C: D3B140B8 18037124
	v_pk_mul_f32 v[186:187], v[36:37], v[186:187]              // 000000004594: D3B140BA 18037524
	v_pk_mul_f32 v[188:189], v[36:37], v[188:189]              // 00000000459C: D3B140BC 18037924
	v_pk_mul_f32 v[190:191], v[36:37], v[190:191]              // 0000000045A4: D3B140BE 18037D24
	v_pk_mul_f32 v[192:193], v[36:37], v[192:193]              // 0000000045AC: D3B140C0 18038124
	v_pk_mul_f32 v[194:195], v[36:37], v[194:195]              // 0000000045B4: D3B140C2 18038524
	v_pk_mul_f32 v[196:197], v[36:37], v[196:197]              // 0000000045BC: D3B140C4 18038924
	v_pk_mul_f32 v[198:199], v[36:37], v[198:199]              // 0000000045C4: D3B140C6 18038D24
	v_pk_mul_f32 v[200:201], v[36:37], v[200:201]              // 0000000045CC: D3B140C8 18039124
	v_pk_mul_f32 v[202:203], v[36:37], v[202:203]              // 0000000045D4: D3B140CA 18039524
	v_mfma_f32_32x32x64_f8f6f4 v[60:75], a[136:143], a[64:71], v[60:75]// 0000000045DC: D3AE003C 1CF28188
	buffer_load_dwordx4 v217, s[20:23], 0 offen offset:512 lds // 0000000045E4: E05D1200 800500D9
	s_add_i32 m0, m0, 0x3c0                                    // 0000000045EC: 817CFF7C 000003C0
	s_addk_i32 s70, 0x1                                        // 0000000045F4: B7460001
	s_cmp_lt_i32 s70, s71                                      // 0000000045F8: BF044746
	s_cbranch_scc0 label_316C                                  // 0000000045FC: BF84039B
	v_mul_u32_u24_e64 v217, v32, s68                           // 000000004600: D10800D9 00008920
	v_add_u32_e32 v217, v217, v1                               // 000000004608: 69B203D9
	s_waitcnt vmcnt(10)                                        // 00000000460C: BF8C0F7A
	s_barrier                                                  // 000000004610: BF8A0000
	s_waitcnt lgkmcnt(8)                                       // 000000004614: BF8CC87F
	v_mfma_f32_32x32x64_f8f6f4 v[76:91], a[72:79], v[44:51], v[76:91]// 000000004618: D3AE004C 0D325948
	ds_read_b128 a[72:75], v24                                 // 000000004620: DBFE0000 48000018
	ds_read_b128 a[76:79], v25                                 // 000000004628: DBFE0000 4C000019
	v_mov_b32_e32 v213, v60                                    // 000000004630: 7FAA033C
	v_max3_f32 v213, v60, v61, v213                            // 000000004634: D1D300D5 07567B3C
	v_max3_f32 v213, v62, v63, v213                            // 00000000463C: D1D300D5 07567F3E
	v_max3_f32 v213, v64, v65, v213                            // 000000004644: D1D300D5 07568340
	v_max3_f32 v213, v66, v67, v213                            // 00000000464C: D1D300D5 07568742
	v_max3_f32 v213, v68, v69, v213                            // 000000004654: D1D300D5 07568B44
	v_max3_f32 v213, v70, v71, v213                            // 00000000465C: D1D300D5 07568F46
	v_max3_f32 v213, v72, v73, v213                            // 000000004664: D1D300D5 07569348
	v_max3_f32 v213, v74, v75, v213                            // 00000000466C: D1D300D5 0756974A
	v_mov_b32_e32 v35, v213                                    // 000000004674: 7E4603D5
	v_mov_b32_e32 v36, v213                                    // 000000004678: 7E4803D5
	s_nop 0                                                    // 00000000467C: BF800000
	v_mfma_f32_32x32x64_f8f6f4 v[92:107], a[80:87], v[44:51], v[92:107]// 000000004680: D3AE005C 0D725950
	v_permlane32_swap_b32_e32 v35, v36                         // 000000004688: 7E46B524
	v_max3_f32 v213, v35, v36, v213                            // 00000000468C: D1D300D5 07564923
	ds_write_b32 v41, v213                                     // 000000004694: D81A0000 0000D529
	s_mov_b32 s56, 0x1d000                                     // 00000000469C: BEB800FF 0001D000
	s_mul_i32 s57, s7, 0x2400                                  // 0000000046A4: 9239FF07 00002400
	s_add_u32 m0, s56, s57                                     // 0000000046AC: 807C3938
	buffer_load_dwordx4 v217, s[20:23], 0 offen lds            // 0000000046B0: E05D1000 800500D9
	s_add_i32 m0, m0, 0x3c0                                    // 0000000046B8: 817CFF7C 000003C0
	buffer_load_dwordx4 v217, s[20:23], 0 offen offset:64 lds  // 0000000046C0: E05D1040 800500D9
	s_add_i32 m0, m0, 0x3c0                                    // 0000000046C8: 817CFF7C 000003C0
	s_waitcnt lgkmcnt(0)                                       // 0000000046D0: BF8CC07F
	s_barrier                                                  // 0000000046D4: BF8A0000
	v_mfma_f32_32x32x64_f8f6f4 v[108:123], a[88:95], v[44:51], v[108:123]// 0000000046D8: D3AE006C 0DB25958
	ds_read_b32 v35, v40                                       // 0000000046E0: D86C0000 23000028
	ds_read_b32 v36, v40 offset:256                            // 0000000046E8: D86C0100 24000028
	s_waitcnt lgkmcnt(0)                                       // 0000000046F0: BF8CC07F
	v_max3_f32 v213, v35, v36, v213                            // 0000000046F4: D1D300D5 07564923
	v_mov_b32_e32 v35, 0xff800000                              // 0000000046FC: 7E4602FF FF800000
	v_cmp_eq_u32_e64 s[36:37], v35, v2                         // 000000004704: D0CA0024 00020523
	v_max_f32_e32 v216, v213, v2                               // 00000000470C: 17B005D5
	v_sub_f32_e32 v21, v2, v216                                // 000000004710: 042BB102
	v_cndmask_b32_e64 v21, v21, 0, s[36:37]                    // 000000004714: D1000015 00910115
	v_mfma_f32_32x32x64_f8f6f4 v[124:139], a[96:103], v[44:51], v[124:139]// 00000000471C: D3AE007C 0DF25960
	buffer_load_dwordx4 v217, s[20:23], 0 offen offset:128 lds // 000000004724: E05D1080 800500D9
	s_add_i32 m0, m0, 0x3c0                                    // 00000000472C: 817CFF7C 000003C0
	v_mov_b32_e32 v2, v216                                     // 000000004734: 7E0403D8
	v_mul_f32_e32 v212, s5, v216                               // 000000004738: 0BA9B005
	v_mul_f32_e32 v21, s5, v21                                 // 00000000473C: 0A2A2A05
	v_exp_f32_e32 v21, v21                                     // 000000004740: 7E2A4115
	v_fma_f32 v60, v60, s5, -v212                              // 000000004744: D1CB003C 87500B3C
	v_fma_f32 v61, v61, s5, -v212                              // 00000000474C: D1CB003D 87500B3D
	v_fma_f32 v62, v62, s5, -v212                              // 000000004754: D1CB003E 87500B3E
	v_fma_f32 v63, v63, s5, -v212                              // 00000000475C: D1CB003F 87500B3F
	v_fma_f32 v64, v64, s5, -v212                              // 000000004764: D1CB0040 87500B40
	v_fma_f32 v65, v65, s5, -v212                              // 00000000476C: D1CB0041 87500B41
	v_fma_f32 v66, v66, s5, -v212                              // 000000004774: D1CB0042 87500B42
	v_fma_f32 v67, v67, s5, -v212                              // 00000000477C: D1CB0043 87500B43
	v_fma_f32 v68, v68, s5, -v212                              // 000000004784: D1CB0044 87500B44
	v_mfma_f32_32x32x64_f8f6f4 v[140:155], a[104:111], v[44:51], v[140:155]// 00000000478C: D3AE008C 0E325968
	ds_read_b128 a[80:83], v24 offset:1024                     // 000000004794: DBFE0400 50000018
	ds_read_b128 a[84:87], v25 offset:1024                     // 00000000479C: DBFE0400 54000019
	ds_read_b128 a[88:91], v24 offset:2048                     // 0000000047A4: DBFE0800 58000018
	ds_read_b128 a[92:95], v25 offset:2048                     // 0000000047AC: DBFE0800 5C000019
	ds_read_b128 a[96:99], v24 offset:3072                     // 0000000047B4: DBFE0C00 60000018
	ds_read_b128 a[100:103], v25 offset:3072                   // 0000000047BC: DBFE0C00 64000019
	v_fma_f32 v69, v69, s5, -v212                              // 0000000047C4: D1CB0045 87500B45
	v_fma_f32 v70, v70, s5, -v212                              // 0000000047CC: D1CB0046 87500B46
	v_fma_f32 v71, v71, s5, -v212                              // 0000000047D4: D1CB0047 87500B47
	v_fma_f32 v72, v72, s5, -v212                              // 0000000047DC: D1CB0048 87500B48
	v_fma_f32 v73, v73, s5, -v212                              // 0000000047E4: D1CB0049 87500B49
	v_fma_f32 v74, v74, s5, -v212                              // 0000000047EC: D1CB004A 87500B4A
	v_fma_f32 v75, v75, s5, -v212                              // 0000000047F4: D1CB004B 87500B4B
	v_exp_f32_e32 v60, v60                                     // 0000000047FC: 7E78413C
	v_exp_f32_e32 v61, v61                                     // 000000004800: 7E7A413D
	v_mfma_f32_32x32x64_f8f6f4 v[156:171], a[112:119], v[44:51], v[156:171]// 000000004804: D3AE009C 0E725970
	buffer_load_dwordx4 v217, s[20:23], 0 offen offset:192 lds // 00000000480C: E05D10C0 800500D9
	s_add_i32 m0, m0, 0x3c0                                    // 000000004814: 817CFF7C 000003C0
	v_exp_f32_e32 v62, v62                                     // 00000000481C: 7E7C413E
	v_exp_f32_e32 v63, v63                                     // 000000004820: 7E7E413F
	v_exp_f32_e32 v64, v64                                     // 000000004824: 7E804140
	v_exp_f32_e32 v65, v65                                     // 000000004828: 7E824141
	v_exp_f32_e32 v66, v66                                     // 00000000482C: 7E844142
	v_exp_f32_e32 v67, v67                                     // 000000004830: 7E864143
	v_exp_f32_e32 v68, v68                                     // 000000004834: 7E884144
	v_mfma_f32_32x32x64_f8f6f4 v[172:187], a[120:127], v[44:51], v[172:187]// 000000004838: D3AE00AC 0EB25978
	ds_read_b128 a[104:107], v24 offset:4096                   // 000000004840: DBFE1000 68000018
	ds_read_b128 a[108:111], v25 offset:4096                   // 000000004848: DBFE1000 6C000019
	ds_read_b128 a[112:115], v24 offset:5120                   // 000000004850: DBFE1400 70000018
	ds_read_b128 a[116:119], v25 offset:5120                   // 000000004858: DBFE1400 74000019
	ds_read_b128 a[120:123], v24 offset:6144                   // 000000004860: DBFE1800 78000018
	ds_read_b128 a[124:127], v25 offset:6144                   // 000000004868: DBFE1800 7C000019
	v_exp_f32_e32 v69, v69                                     // 000000004870: 7E8A4145
	v_exp_f32_e32 v70, v70                                     // 000000004874: 7E8C4146
	v_exp_f32_e32 v71, v71                                     // 000000004878: 7E8E4147
	v_exp_f32_e32 v72, v72                                     // 00000000487C: 7E904148
	v_exp_f32_e32 v73, v73                                     // 000000004880: 7E924149
	v_mfma_f32_32x32x64_f8f6f4 v[188:203], a[128:135], v[44:51], v[188:203]// 000000004884: D3AE00BC 0EF25980
	ds_read_b128 a[128:131], v24 offset:7168                   // 00000000488C: DBFE1C00 80000018
	ds_read_b128 a[132:135], v25 offset:7168                   // 000000004894: DBFE1C00 84000019
	ds_read_b128 a[136:139], v24 offset:8192                   // 00000000489C: DBFE2000 88000018
	ds_read_b128 a[140:143], v25 offset:8192                   // 0000000048A4: DBFE2000 8C000019
	v_exp_f32_e32 v74, v74                                     // 0000000048AC: 7E94414A
	v_exp_f32_e32 v75, v75                                     // 0000000048B0: 7E96414B
	v_mul_f32_e32 v4, v21, v4                                  // 0000000048B4: 0A080915
	v_mov_b32_e32 v35, v60                                     // 0000000048B8: 7E46033C
	v_add_f32_e32 v35, v61, v35                                // 0000000048BC: 0246473D
	v_add_f32_e32 v35, v62, v35                                // 0000000048C0: 0246473E
	v_add_f32_e32 v35, v63, v35                                // 0000000048C4: 0246473F
	v_add_f32_e32 v35, v64, v35                                // 0000000048C8: 02464740
	v_add_f32_e32 v35, v65, v35                                // 0000000048CC: 02464741
	v_add_f32_e32 v35, v66, v35                                // 0000000048D0: 02464742
	v_add_f32_e32 v35, v67, v35                                // 0000000048D4: 02464743
	v_add_f32_e32 v35, v68, v35                                // 0000000048D8: 02464744
	v_add_f32_e32 v35, v69, v35                                // 0000000048DC: 02464745
	v_add_f32_e32 v35, v70, v35                                // 0000000048E0: 02464746
	v_add_f32_e32 v35, v71, v35                                // 0000000048E4: 02464747
	v_add_f32_e32 v35, v72, v35                                // 0000000048E8: 02464748
	v_add_f32_e32 v35, v73, v35                                // 0000000048EC: 02464749
	v_add_f32_e32 v35, v74, v35                                // 0000000048F0: 0246474A
	v_add_f32_e32 v35, v75, v35                                // 0000000048F4: 0246474B
	v_add_f32_e32 v4, v35, v4                                  // 0000000048F8: 02080923
	v_cvt_pk_fp8_f32 v60, v60, v61                             // 0000000048FC: D2A2003C 00027B3C
	v_cvt_pk_fp8_f32 v60, v62, v63 op_sel:[0,0,1]              // 000000004904: D2A2403C 00027F3E
	v_cvt_pk_fp8_f32 v61, v64, v65                             // 00000000490C: D2A2003D 00028340
	v_cvt_pk_fp8_f32 v61, v66, v67 op_sel:[0,0,1]              // 000000004914: D2A2403D 00028742
	v_cvt_pk_fp8_f32 v62, v68, v69                             // 00000000491C: D2A2003E 00028B44
	v_cvt_pk_fp8_f32 v62, v70, v71 op_sel:[0,0,1]              // 000000004924: D2A2403E 00028F46
	v_cvt_pk_fp8_f32 v63, v72, v73                             // 00000000492C: D2A2003F 00029348
	v_cvt_pk_fp8_f32 v63, v74, v75 op_sel:[0,0,1]              // 000000004934: D2A2403F 0002974A
	s_waitcnt lgkmcnt(8)                                       // 00000000493C: BF8CC87F
	v_mfma_f32_32x32x64_f8f6f4 v[44:59], a[72:79], a[0:7], 0   // 000000004940: D3AE002C 1A020148
	ds_write_b128 v43, v[60:63] offset:1024                    // 000000004948: D9BE0400 00003C2B
	buffer_load_dword v30, v34, s[24:27], 0 offen              // 000000004950: E0501000 80061E22
	buffer_load_dwordx4 v217, s[20:23], 0 offen offset:256 lds // 000000004958: E05D1100 800500D9
	s_add_i32 m0, m0, 0x3c0                                    // 000000004960: 817CFF7C 000003C0
	v_mul_f32_e32 v76, v21, v76                                // 000000004968: 0A989915
	v_mul_f32_e32 v77, v21, v77                                // 00000000496C: 0A9A9B15
	v_mul_f32_e32 v78, v21, v78                                // 000000004970: 0A9C9D15
	v_mul_f32_e32 v79, v21, v79                                // 000000004974: 0A9E9F15
	v_mul_f32_e32 v80, v21, v80                                // 000000004978: 0AA0A115
	v_mul_f32_e32 v81, v21, v81                                // 00000000497C: 0AA2A315
	v_mul_f32_e32 v82, v21, v82                                // 000000004980: 0AA4A515
	v_mul_f32_e32 v83, v21, v83                                // 000000004984: 0AA6A715
	v_mul_f32_e32 v84, v21, v84                                // 000000004988: 0AA8A915
	v_mfma_f32_32x32x64_f8f6f4 v[44:59], a[80:87], a[8:15], v[44:59]// 00000000498C: D3AE002C 1CB21150
	ds_read_b64_tr_b8 a[72:73], v5                             // 000000004994: DBC40000 48000005
	ds_read_b64_tr_b8 a[74:75], v6                             // 00000000499C: DBC40000 4A000006
	ds_read_b64_tr_b8 a[76:77], v5 offset:18432                // 0000000049A4: DBC44800 4C000005
	ds_read_b64_tr_b8 a[78:79], v6 offset:18432                // 0000000049AC: DBC44800 4E000006
	ds_read_b64_tr_b8 a[80:81], v7                             // 0000000049B4: DBC40000 50000007
	ds_read_b64_tr_b8 a[82:83], v8                             // 0000000049BC: DBC40000 52000008
	ds_read_b64_tr_b8 a[84:85], v7 offset:18432                // 0000000049C4: DBC44800 54000007
	ds_read_b64_tr_b8 a[86:87], v8 offset:18432                // 0000000049CC: DBC44800 56000008
	v_mul_f32_e32 v85, v21, v85                                // 0000000049D4: 0AAAAB15
	v_mul_f32_e32 v86, v21, v86                                // 0000000049D8: 0AACAD15
	v_mul_f32_e32 v87, v21, v87                                // 0000000049DC: 0AAEAF15
	v_mul_f32_e32 v88, v21, v88                                // 0000000049E0: 0AB0B115
	v_mul_f32_e32 v89, v21, v89                                // 0000000049E4: 0AB2B315
	v_mul_f32_e32 v90, v21, v90                                // 0000000049E8: 0AB4B515
	v_mul_f32_e32 v91, v21, v91                                // 0000000049EC: 0AB6B715
	v_mul_f32_e32 v92, v21, v92                                // 0000000049F0: 0AB8B915
	v_mul_f32_e32 v93, v21, v93                                // 0000000049F4: 0ABABB15
	v_mul_f32_e32 v94, v21, v94                                // 0000000049F8: 0ABCBD15
	v_mul_f32_e32 v95, v21, v95                                // 0000000049FC: 0ABEBF15
	v_mul_f32_e32 v96, v21, v96                                // 000000004A00: 0AC0C115
	s_waitcnt lgkmcnt(0)                                       // 000000004A04: BF8CC07F
	s_barrier                                                  // 000000004A08: BF8A0000
	v_mfma_f32_32x32x64_f8f6f4 v[44:59], a[88:95], a[16:23], v[44:59]// 000000004A0C: D3AE002C 1CB22158
	ds_read_b128 v[60:63], v42 offset:1024                     // 000000004A14: D9FE0400 3C00002A
	ds_read_b128 v[64:67], v42 offset:2048                     // 000000004A1C: D9FE0800 4000002A
	buffer_load_dwordx4 v217, s[20:23], 0 offen offset:320 lds // 000000004A24: E05D1140 800500D9
	s_add_i32 m0, m0, 0x3c0                                    // 000000004A2C: 817CFF7C 000003C0
	v_mul_f32_e32 v97, v21, v97                                // 000000004A34: 0AC2C315
	v_mul_f32_e32 v98, v21, v98                                // 000000004A38: 0AC4C515
	v_mul_f32_e32 v99, v21, v99                                // 000000004A3C: 0AC6C715
	v_mul_f32_e32 v100, v21, v100                              // 000000004A40: 0AC8C915
	v_mul_f32_e32 v101, v21, v101                              // 000000004A44: 0ACACB15
	v_mul_f32_e32 v102, v21, v102                              // 000000004A48: 0ACCCD15
	v_mul_f32_e32 v103, v21, v103                              // 000000004A4C: 0ACECF15
	v_mul_f32_e32 v104, v21, v104                              // 000000004A50: 0AD0D115
	v_mul_f32_e32 v105, v21, v105                              // 000000004A54: 0AD2D315
	v_mul_f32_e32 v106, v21, v106                              // 000000004A58: 0AD4D515
	v_mul_f32_e32 v107, v21, v107                              // 000000004A5C: 0AD6D715
	v_mul_f32_e32 v108, v21, v108                              // 000000004A60: 0AD8D915
	v_add_u32_e32 v34, s73, v34                                // 000000004A64: 68444449
	v_mfma_f32_32x32x64_f8f6f4 v[44:59], a[96:103], a[24:31], v[44:59]// 000000004A68: D3AE002C 1CB23160
	ds_read_b64_tr_b8 a[88:89], v5 offset:1024                 // 000000004A70: DBC40400 58000005
	ds_read_b64_tr_b8 a[90:91], v6 offset:1024                 // 000000004A78: DBC40400 5A000006
	ds_read_b64_tr_b8 a[92:93], v5 offset:19456                // 000000004A80: DBC44C00 5C000005
	ds_read_b64_tr_b8 a[94:95], v6 offset:19456                // 000000004A88: DBC44C00 5E000006
	ds_read_b64_tr_b8 a[96:97], v7 offset:1024                 // 000000004A90: DBC40400 60000007
	ds_read_b64_tr_b8 a[98:99], v8 offset:1024                 // 000000004A98: DBC40400 62000008
	ds_read_b64_tr_b8 a[100:101], v7 offset:19456              // 000000004AA0: DBC44C00 64000007
	ds_read_b64_tr_b8 a[102:103], v8 offset:19456              // 000000004AA8: DBC44C00 66000008
	v_mul_f32_e32 v109, v21, v109                              // 000000004AB0: 0ADADB15
	v_mul_f32_e32 v110, v21, v110                              // 000000004AB4: 0ADCDD15
	v_mul_f32_e32 v111, v21, v111                              // 000000004AB8: 0ADEDF15
	v_mul_f32_e32 v112, v21, v112                              // 000000004ABC: 0AE0E115
	v_mul_f32_e32 v113, v21, v113                              // 000000004AC0: 0AE2E315
	v_mul_f32_e32 v114, v21, v114                              // 000000004AC4: 0AE4E515
	v_mul_f32_e32 v115, v21, v115                              // 000000004AC8: 0AE6E715
	v_mul_f32_e32 v116, v21, v116                              // 000000004ACC: 0AE8E915
	v_mul_f32_e32 v117, v21, v117                              // 000000004AD0: 0AEAEB15
	v_mul_f32_e32 v118, v21, v118                              // 000000004AD4: 0AECED15
	v_mul_f32_e32 v119, v21, v119                              // 000000004AD8: 0AEEEF15
	v_mul_f32_e32 v120, v21, v120                              // 000000004ADC: 0AF0F115
	v_mfma_f32_32x32x64_f8f6f4 v[44:59], a[104:111], a[32:39], v[44:59]// 000000004AE0: D3AE002C 1CB24168
	buffer_load_dwordx4 v217, s[20:23], 0 offen offset:384 lds // 000000004AE8: E05D1180 800500D9
	s_add_i32 m0, m0, 0x3c0                                    // 000000004AF0: 817CFF7C 000003C0
	v_mul_f32_e32 v121, v21, v121                              // 000000004AF8: 0AF2F315
	v_mul_f32_e32 v122, v21, v122                              // 000000004AFC: 0AF4F515
	v_mul_f32_e32 v123, v21, v123                              // 000000004B00: 0AF6F715
	v_mul_f32_e32 v124, v21, v124                              // 000000004B04: 0AF8F915
	v_mul_f32_e32 v125, v21, v125                              // 000000004B08: 0AFAFB15
	v_mul_f32_e32 v126, v21, v126                              // 000000004B0C: 0AFCFD15
	v_mul_f32_e32 v127, v21, v127                              // 000000004B10: 0AFEFF15
	v_mul_f32_e32 v128, v21, v128                              // 000000004B14: 0B010115
	v_mul_f32_e32 v129, v21, v129                              // 000000004B18: 0B030315
	v_mul_f32_e32 v130, v21, v130                              // 000000004B1C: 0B050515
	v_mul_f32_e32 v131, v21, v131                              // 000000004B20: 0B070715
	v_mul_f32_e32 v132, v21, v132                              // 000000004B24: 0B090915
	v_mfma_f32_32x32x64_f8f6f4 v[44:59], a[112:119], a[40:47], v[44:59]// 000000004B28: D3AE002C 1CB25170
	s_waitcnt lgkmcnt(0)                                       // 000000004B30: BF8CC07F
	ds_read_b64_tr_b8 a[104:105], v5 offset:2048               // 000000004B34: DBC40800 68000005
	ds_read_b64_tr_b8 a[106:107], v6 offset:2048               // 000000004B3C: DBC40800 6A000006
	ds_read_b64_tr_b8 a[108:109], v5 offset:20480              // 000000004B44: DBC45000 6C000005
	ds_read_b64_tr_b8 a[110:111], v6 offset:20480              // 000000004B4C: DBC45000 6E000006
	ds_read_b64_tr_b8 a[112:113], v7 offset:2048               // 000000004B54: DBC40800 70000007
	ds_read_b64_tr_b8 a[114:115], v8 offset:2048               // 000000004B5C: DBC40800 72000008
	ds_read_b64_tr_b8 a[116:117], v7 offset:20480              // 000000004B64: DBC45000 74000007
	ds_read_b64_tr_b8 a[118:119], v8 offset:20480              // 000000004B6C: DBC45000 76000008
	v_mul_f32_e32 v133, v21, v133                              // 000000004B74: 0B0B0B15
	v_mul_f32_e32 v134, v21, v134                              // 000000004B78: 0B0D0D15
	v_mul_f32_e32 v135, v21, v135                              // 000000004B7C: 0B0F0F15
	v_mul_f32_e32 v136, v21, v136                              // 000000004B80: 0B111115
	v_mul_f32_e32 v137, v21, v137                              // 000000004B84: 0B131315
	v_mul_f32_e32 v138, v21, v138                              // 000000004B88: 0B151515
	v_mul_f32_e32 v139, v21, v139                              // 000000004B8C: 0B171715
	v_mfma_f32_32x32x64_f8f6f4 v[44:59], a[120:127], a[48:55], v[44:59]// 000000004B90: D3AE002C 1CB26178
	buffer_load_dwordx4 v217, s[20:23], 0 offen offset:448 lds // 000000004B98: E05D11C0 800500D9
	s_add_i32 m0, m0, 0x3c0                                    // 000000004BA0: 817CFF7C 000003C0
	v_permlane32_swap_b32_e32 v60, v62                         // 000000004BA8: 7E78B53E
	v_permlane32_swap_b32_e32 v61, v63                         // 000000004BAC: 7E7AB53F
	v_swap_b32 v61, v62                                        // 000000004BB0: 7E7AA33E
	v_permlane32_swap_b32_e32 v64, v66                         // 000000004BB4: 7E80B542
	v_permlane32_swap_b32_e32 v65, v67                         // 000000004BB8: 7E82B543
	v_swap_b32 v65, v66                                        // 000000004BBC: 7E82A342
	v_mfma_f32_32x32x64_f8f6f4 v[44:59], a[128:135], a[56:63], v[44:59]// 000000004BC0: D3AE002C 1CB27180
	ds_read_b64_tr_b8 a[120:121], v5 offset:3072               // 000000004BC8: DBC40C00 78000005
	ds_read_b64_tr_b8 a[122:123], v6 offset:3072               // 000000004BD0: DBC40C00 7A000006
	ds_read_b64_tr_b8 a[124:125], v5 offset:21504              // 000000004BD8: DBC45400 7C000005
	ds_read_b64_tr_b8 a[126:127], v6 offset:21504              // 000000004BE0: DBC45400 7E000006
	ds_read_b64_tr_b8 a[128:129], v7 offset:3072               // 000000004BE8: DBC40C00 80000007
	ds_read_b64_tr_b8 a[130:131], v8 offset:3072               // 000000004BF0: DBC40C00 82000008
	ds_read_b64_tr_b8 a[132:133], v7 offset:21504              // 000000004BF8: DBC45400 84000007
	ds_read_b64_tr_b8 a[134:135], v8 offset:21504              // 000000004C00: DBC45400 86000008
	v_mov_b32_e32 v36, v21                                     // 000000004C08: 7E480315
	v_mov_b32_e32 v37, v21                                     // 000000004C0C: 7E4A0315
	v_pk_mul_f32 v[140:141], v[36:37], v[140:141]              // 000000004C10: D3B1408C 18031924
	v_pk_mul_f32 v[142:143], v[36:37], v[142:143]              // 000000004C18: D3B1408E 18031D24
	v_pk_mul_f32 v[144:145], v[36:37], v[144:145]              // 000000004C20: D3B14090 18032124
	v_pk_mul_f32 v[146:147], v[36:37], v[146:147]              // 000000004C28: D3B14092 18032524
	v_pk_mul_f32 v[148:149], v[36:37], v[148:149]              // 000000004C30: D3B14094 18032924
	v_pk_mul_f32 v[150:151], v[36:37], v[150:151]              // 000000004C38: D3B14096 18032D24
	v_pk_mul_f32 v[152:153], v[36:37], v[152:153]              // 000000004C40: D3B14098 18033124
	v_pk_mul_f32 v[154:155], v[36:37], v[154:155]              // 000000004C48: D3B1409A 18033524
	v_pk_mul_f32 v[156:157], v[36:37], v[156:157]              // 000000004C50: D3B1409C 18033924
	v_pk_mul_f32 v[158:159], v[36:37], v[158:159]              // 000000004C58: D3B1409E 18033D24
	v_pk_mul_f32 v[160:161], v[36:37], v[160:161]              // 000000004C60: D3B140A0 18034124
	v_pk_mul_f32 v[162:163], v[36:37], v[162:163]              // 000000004C68: D3B140A2 18034524
	v_pk_mul_f32 v[164:165], v[36:37], v[164:165]              // 000000004C70: D3B140A4 18034924
	v_pk_mul_f32 v[166:167], v[36:37], v[166:167]              // 000000004C78: D3B140A6 18034D24
	v_pk_mul_f32 v[168:169], v[36:37], v[168:169]              // 000000004C80: D3B140A8 18035124
	v_pk_mul_f32 v[170:171], v[36:37], v[170:171]              // 000000004C88: D3B140AA 18035524
	v_pk_mul_f32 v[172:173], v[36:37], v[172:173]              // 000000004C90: D3B140AC 18035924
	v_pk_mul_f32 v[174:175], v[36:37], v[174:175]              // 000000004C98: D3B140AE 18035D24
	v_pk_mul_f32 v[176:177], v[36:37], v[176:177]              // 000000004CA0: D3B140B0 18036124
	v_pk_mul_f32 v[178:179], v[36:37], v[178:179]              // 000000004CA8: D3B140B2 18036524
	v_pk_mul_f32 v[180:181], v[36:37], v[180:181]              // 000000004CB0: D3B140B4 18036924
	v_pk_mul_f32 v[182:183], v[36:37], v[182:183]              // 000000004CB8: D3B140B6 18036D24
	v_pk_mul_f32 v[184:185], v[36:37], v[184:185]              // 000000004CC0: D3B140B8 18037124
	v_pk_mul_f32 v[186:187], v[36:37], v[186:187]              // 000000004CC8: D3B140BA 18037524
	v_pk_mul_f32 v[188:189], v[36:37], v[188:189]              // 000000004CD0: D3B140BC 18037924
	v_pk_mul_f32 v[190:191], v[36:37], v[190:191]              // 000000004CD8: D3B140BE 18037D24
	v_pk_mul_f32 v[192:193], v[36:37], v[192:193]              // 000000004CE0: D3B140C0 18038124
	v_pk_mul_f32 v[194:195], v[36:37], v[194:195]              // 000000004CE8: D3B140C2 18038524
	v_pk_mul_f32 v[196:197], v[36:37], v[196:197]              // 000000004CF0: D3B140C4 18038924
	v_pk_mul_f32 v[198:199], v[36:37], v[198:199]              // 000000004CF8: D3B140C6 18038D24
	v_pk_mul_f32 v[200:201], v[36:37], v[200:201]              // 000000004D00: D3B140C8 18039124
	v_pk_mul_f32 v[202:203], v[36:37], v[202:203]              // 000000004D08: D3B140CA 18039524
	v_mfma_f32_32x32x64_f8f6f4 v[44:59], a[136:143], a[64:71], v[44:59]// 000000004D10: D3AE002C 1CB28188
	buffer_load_dwordx4 v217, s[20:23], 0 offen offset:512 lds // 000000004D18: E05D1200 800500D9
	s_add_i32 m0, m0, 0x3c0                                    // 000000004D20: 817CFF7C 000003C0
	s_addk_i32 s70, 0x1                                        // 000000004D28: B7460001
	s_cmp_lt_i32 s70, s71                                      // 000000004D2C: BF044746
	s_cbranch_scc0 label_316C                                  // 000000004D30: BF8401CE
	v_mul_u32_u24_e64 v217, v33, s68                           // 000000004D34: D10800D9 00008921
	v_add_u32_e32 v217, v217, v1                               // 000000004D3C: 69B203D9
	s_waitcnt vmcnt(10)                                        // 000000004D40: BF8C0F7A
	s_barrier                                                  // 000000004D44: BF8A0000
	s_waitcnt lgkmcnt(8)                                       // 000000004D48: BF8CC87F
	v_mfma_f32_32x32x64_f8f6f4 v[76:91], a[72:79], v[60:67], v[76:91]// 000000004D4C: D3AE004C 0D327948
	ds_read_b128 a[72:75], v26                                 // 000000004D54: DBFE0000 4800001A
	ds_read_b128 a[76:79], v27                                 // 000000004D5C: DBFE0000 4C00001B
	v_mov_b32_e32 v213, v44                                    // 000000004D64: 7FAA032C
	v_max3_f32 v213, v44, v45, v213                            // 000000004D68: D1D300D5 07565B2C
	v_max3_f32 v213, v46, v47, v213                            // 000000004D70: D1D300D5 07565F2E
	v_max3_f32 v213, v48, v49, v213                            // 000000004D78: D1D300D5 07566330
	v_max3_f32 v213, v50, v51, v213                            // 000000004D80: D1D300D5 07566732
	v_max3_f32 v213, v52, v53, v213                            // 000000004D88: D1D300D5 07566B34
	v_max3_f32 v213, v54, v55, v213                            // 000000004D90: D1D300D5 07566F36
	v_max3_f32 v213, v56, v57, v213                            // 000000004D98: D1D300D5 07567338
	v_max3_f32 v213, v58, v59, v213                            // 000000004DA0: D1D300D5 0756773A
	v_mov_b32_e32 v35, v213                                    // 000000004DA8: 7E4603D5
	v_mov_b32_e32 v36, v213                                    // 000000004DAC: 7E4803D5
	s_nop 0                                                    // 000000004DB0: BF800000
	v_mfma_f32_32x32x64_f8f6f4 v[92:107], a[80:87], v[60:67], v[92:107]// 000000004DB4: D3AE005C 0D727950
	v_permlane32_swap_b32_e32 v35, v36                         // 000000004DBC: 7E46B524
	v_max3_f32 v213, v35, v36, v213                            // 000000004DC0: D1D300D5 07564923
	ds_write_b32 v41, v213                                     // 000000004DC8: D81A0000 0000D529
	s_mov_b32 s56, 0x2000                                      // 000000004DD0: BEB800FF 00002000
	s_mul_i32 s57, s7, 0x2400                                  // 000000004DD8: 9239FF07 00002400
	s_add_u32 m0, s56, s57                                     // 000000004DE0: 807C3938
	buffer_load_dwordx4 v217, s[20:23], 0 offen lds            // 000000004DE4: E05D1000 800500D9
	s_add_i32 m0, m0, 0x3c0                                    // 000000004DEC: 817CFF7C 000003C0
	buffer_load_dwordx4 v217, s[20:23], 0 offen offset:64 lds  // 000000004DF4: E05D1040 800500D9
	s_add_i32 m0, m0, 0x3c0                                    // 000000004DFC: 817CFF7C 000003C0
	s_waitcnt lgkmcnt(0)                                       // 000000004E04: BF8CC07F
	s_barrier                                                  // 000000004E08: BF8A0000
	v_mfma_f32_32x32x64_f8f6f4 v[108:123], a[88:95], v[60:67], v[108:123]// 000000004E0C: D3AE006C 0DB27958
	ds_read_b32 v35, v40                                       // 000000004E14: D86C0000 23000028
	ds_read_b32 v36, v40 offset:256                            // 000000004E1C: D86C0100 24000028
	s_waitcnt lgkmcnt(0)                                       // 000000004E24: BF8CC07F
	v_max3_f32 v213, v35, v36, v213                            // 000000004E28: D1D300D5 07564923
	v_mov_b32_e32 v35, 0xff800000                              // 000000004E30: 7E4602FF FF800000
	v_cmp_eq_u32_e64 s[36:37], v35, v2                         // 000000004E38: D0CA0024 00020523
	v_max_f32_e32 v216, v213, v2                               // 000000004E40: 17B005D5
	v_sub_f32_e32 v21, v2, v216                                // 000000004E44: 042BB102
	v_cndmask_b32_e64 v21, v21, 0, s[36:37]                    // 000000004E48: D1000015 00910115
	v_mfma_f32_32x32x64_f8f6f4 v[124:139], a[96:103], v[60:67], v[124:139]// 000000004E50: D3AE007C 0DF27960
	buffer_load_dwordx4 v217, s[20:23], 0 offen offset:128 lds // 000000004E58: E05D1080 800500D9
	s_add_i32 m0, m0, 0x3c0                                    // 000000004E60: 817CFF7C 000003C0
	v_mov_b32_e32 v2, v216                                     // 000000004E68: 7E0403D8
	v_mul_f32_e32 v212, s5, v216                               // 000000004E6C: 0BA9B005
	v_mul_f32_e32 v21, s5, v21                                 // 000000004E70: 0A2A2A05
	v_exp_f32_e32 v21, v21                                     // 000000004E74: 7E2A4115
	v_fma_f32 v44, v44, s5, -v212                              // 000000004E78: D1CB002C 87500B2C
	v_fma_f32 v45, v45, s5, -v212                              // 000000004E80: D1CB002D 87500B2D
	v_fma_f32 v46, v46, s5, -v212                              // 000000004E88: D1CB002E 87500B2E
	v_fma_f32 v47, v47, s5, -v212                              // 000000004E90: D1CB002F 87500B2F
	v_fma_f32 v48, v48, s5, -v212                              // 000000004E98: D1CB0030 87500B30
	v_fma_f32 v49, v49, s5, -v212                              // 000000004EA0: D1CB0031 87500B31
	v_fma_f32 v50, v50, s5, -v212                              // 000000004EA8: D1CB0032 87500B32
	v_fma_f32 v51, v51, s5, -v212                              // 000000004EB0: D1CB0033 87500B33
	v_fma_f32 v52, v52, s5, -v212                              // 000000004EB8: D1CB0034 87500B34
	v_mfma_f32_32x32x64_f8f6f4 v[140:155], a[104:111], v[60:67], v[140:155]// 000000004EC0: D3AE008C 0E327968
	ds_read_b128 a[80:83], v26 offset:1024                     // 000000004EC8: DBFE0400 5000001A
	ds_read_b128 a[84:87], v27 offset:1024                     // 000000004ED0: DBFE0400 5400001B
	ds_read_b128 a[88:91], v26 offset:2048                     // 000000004ED8: DBFE0800 5800001A
	ds_read_b128 a[92:95], v27 offset:2048                     // 000000004EE0: DBFE0800 5C00001B
	ds_read_b128 a[96:99], v26 offset:3072                     // 000000004EE8: DBFE0C00 6000001A
	ds_read_b128 a[100:103], v27 offset:3072                   // 000000004EF0: DBFE0C00 6400001B
	v_fma_f32 v53, v53, s5, -v212                              // 000000004EF8: D1CB0035 87500B35
	v_fma_f32 v54, v54, s5, -v212                              // 000000004F00: D1CB0036 87500B36
	v_fma_f32 v55, v55, s5, -v212                              // 000000004F08: D1CB0037 87500B37
	v_fma_f32 v56, v56, s5, -v212                              // 000000004F10: D1CB0038 87500B38
	v_fma_f32 v57, v57, s5, -v212                              // 000000004F18: D1CB0039 87500B39
	v_fma_f32 v58, v58, s5, -v212                              // 000000004F20: D1CB003A 87500B3A
	v_fma_f32 v59, v59, s5, -v212                              // 000000004F28: D1CB003B 87500B3B
	v_exp_f32_e32 v44, v44                                     // 000000004F30: 7E58412C
	v_exp_f32_e32 v45, v45                                     // 000000004F34: 7E5A412D
	v_mfma_f32_32x32x64_f8f6f4 v[156:171], a[112:119], v[60:67], v[156:171]// 000000004F38: D3AE009C 0E727970
	buffer_load_dwordx4 v217, s[20:23], 0 offen offset:192 lds // 000000004F40: E05D10C0 800500D9
	s_add_i32 m0, m0, 0x3c0                                    // 000000004F48: 817CFF7C 000003C0
	v_exp_f32_e32 v46, v46                                     // 000000004F50: 7E5C412E
	v_exp_f32_e32 v47, v47                                     // 000000004F54: 7E5E412F
	v_exp_f32_e32 v48, v48                                     // 000000004F58: 7E604130
	v_exp_f32_e32 v49, v49                                     // 000000004F5C: 7E624131
	v_exp_f32_e32 v50, v50                                     // 000000004F60: 7E644132
	v_exp_f32_e32 v51, v51                                     // 000000004F64: 7E664133
	v_exp_f32_e32 v52, v52                                     // 000000004F68: 7E684134
	v_mfma_f32_32x32x64_f8f6f4 v[172:187], a[120:127], v[60:67], v[172:187]// 000000004F6C: D3AE00AC 0EB27978
	ds_read_b128 a[104:107], v26 offset:4096                   // 000000004F74: DBFE1000 6800001A
	ds_read_b128 a[108:111], v27 offset:4096                   // 000000004F7C: DBFE1000 6C00001B
	ds_read_b128 a[112:115], v26 offset:5120                   // 000000004F84: DBFE1400 7000001A
	ds_read_b128 a[116:119], v27 offset:5120                   // 000000004F8C: DBFE1400 7400001B
	ds_read_b128 a[120:123], v26 offset:6144                   // 000000004F94: DBFE1800 7800001A
	ds_read_b128 a[124:127], v27 offset:6144                   // 000000004F9C: DBFE1800 7C00001B
	v_exp_f32_e32 v53, v53                                     // 000000004FA4: 7E6A4135
	v_exp_f32_e32 v54, v54                                     // 000000004FA8: 7E6C4136
	v_exp_f32_e32 v55, v55                                     // 000000004FAC: 7E6E4137
	v_exp_f32_e32 v56, v56                                     // 000000004FB0: 7E704138
	v_exp_f32_e32 v57, v57                                     // 000000004FB4: 7E724139
	v_mfma_f32_32x32x64_f8f6f4 v[188:203], a[128:135], v[60:67], v[188:203]// 000000004FB8: D3AE00BC 0EF27980
	ds_read_b128 a[128:131], v26 offset:7168                   // 000000004FC0: DBFE1C00 8000001A
	ds_read_b128 a[132:135], v27 offset:7168                   // 000000004FC8: DBFE1C00 8400001B
	ds_read_b128 a[136:139], v26 offset:8192                   // 000000004FD0: DBFE2000 8800001A
	ds_read_b128 a[140:143], v27 offset:8192                   // 000000004FD8: DBFE2000 8C00001B
	v_exp_f32_e32 v58, v58                                     // 000000004FE0: 7E74413A
	v_exp_f32_e32 v59, v59                                     // 000000004FE4: 7E76413B
	v_mul_f32_e32 v4, v21, v4                                  // 000000004FE8: 0A080915
	v_mov_b32_e32 v35, v44                                     // 000000004FEC: 7E46032C
	v_add_f32_e32 v35, v45, v35                                // 000000004FF0: 0246472D
	v_add_f32_e32 v35, v46, v35                                // 000000004FF4: 0246472E
	v_add_f32_e32 v35, v47, v35                                // 000000004FF8: 0246472F
	v_add_f32_e32 v35, v48, v35                                // 000000004FFC: 02464730
	v_add_f32_e32 v35, v49, v35                                // 000000005000: 02464731
	v_add_f32_e32 v35, v50, v35                                // 000000005004: 02464732
	;; [unrolled: 1-line block ×3, first 2 shown]
	v_add_f32_e32 v35, v52, v35                                // 00000000500C: 02464734
	v_add_f32_e32 v35, v53, v35                                // 000000005010: 02464735
	v_add_f32_e32 v35, v54, v35                                // 000000005014: 02464736
	;; [unrolled: 1-line block ×3, first 2 shown]
	v_add_f32_e32 v35, v56, v35                                // 00000000501C: 02464738
	v_add_f32_e32 v35, v57, v35                                // 000000005020: 02464739
	v_add_f32_e32 v35, v58, v35                                // 000000005024: 0246473A
	v_add_f32_e32 v35, v59, v35                                // 000000005028: 0246473B
	v_add_f32_e32 v4, v35, v4                                  // 00000000502C: 02080923
	v_cvt_pk_fp8_f32 v44, v44, v45                             // 000000005030: D2A2002C 00025B2C
	v_cvt_pk_fp8_f32 v44, v46, v47 op_sel:[0,0,1]              // 000000005038: D2A2402C 00025F2E
	v_cvt_pk_fp8_f32 v45, v48, v49                             // 000000005040: D2A2002D 00026330
	v_cvt_pk_fp8_f32 v45, v50, v51 op_sel:[0,0,1]              // 000000005048: D2A2402D 00026732
	v_cvt_pk_fp8_f32 v46, v52, v53                             // 000000005050: D2A2002E 00026B34
	v_cvt_pk_fp8_f32 v46, v54, v55 op_sel:[0,0,1]              // 000000005058: D2A2402E 00026F36
	v_cvt_pk_fp8_f32 v47, v56, v57                             // 000000005060: D2A2002F 00027338
	v_cvt_pk_fp8_f32 v47, v58, v59 op_sel:[0,0,1]              // 000000005068: D2A2402F 0002773A
	s_waitcnt lgkmcnt(8)                                       // 000000005070: BF8CC87F
	v_mfma_f32_32x32x64_f8f6f4 v[60:75], a[72:79], a[0:7], 0   // 000000005074: D3AE003C 1A020148
	ds_write_b128 v43, v[44:47] offset:1024                    // 00000000507C: D9BE0400 00002C2B
	buffer_load_dword v31, v34, s[24:27], 0 offen              // 000000005084: E0501000 80061F22
	buffer_load_dwordx4 v217, s[20:23], 0 offen offset:256 lds // 00000000508C: E05D1100 800500D9
	s_add_i32 m0, m0, 0x3c0                                    // 000000005094: 817CFF7C 000003C0
	v_mul_f32_e32 v76, v21, v76                                // 00000000509C: 0A989915
	v_mul_f32_e32 v77, v21, v77                                // 0000000050A0: 0A9A9B15
	v_mul_f32_e32 v78, v21, v78                                // 0000000050A4: 0A9C9D15
	v_mul_f32_e32 v79, v21, v79                                // 0000000050A8: 0A9E9F15
	v_mul_f32_e32 v80, v21, v80                                // 0000000050AC: 0AA0A115
	v_mul_f32_e32 v81, v21, v81                                // 0000000050B0: 0AA2A315
	v_mul_f32_e32 v82, v21, v82                                // 0000000050B4: 0AA4A515
	v_mul_f32_e32 v83, v21, v83                                // 0000000050B8: 0AA6A715
	v_mul_f32_e32 v84, v21, v84                                // 0000000050BC: 0AA8A915
	v_mfma_f32_32x32x64_f8f6f4 v[60:75], a[80:87], a[8:15], v[60:75]// 0000000050C0: D3AE003C 1CF21150
	ds_read_b64_tr_b8 a[72:73], v9                             // 0000000050C8: DBC40000 48000009
	ds_read_b64_tr_b8 a[74:75], v10                            // 0000000050D0: DBC40000 4A00000A
	ds_read_b64_tr_b8 a[76:77], v9 offset:18432                // 0000000050D8: DBC44800 4C000009
	ds_read_b64_tr_b8 a[78:79], v10 offset:18432               // 0000000050E0: DBC44800 4E00000A
	ds_read_b64_tr_b8 a[80:81], v11                            // 0000000050E8: DBC40000 5000000B
	ds_read_b64_tr_b8 a[82:83], v12                            // 0000000050F0: DBC40000 5200000C
	ds_read_b64_tr_b8 a[84:85], v11 offset:18432               // 0000000050F8: DBC44800 5400000B
	ds_read_b64_tr_b8 a[86:87], v12 offset:18432               // 000000005100: DBC44800 5600000C
	v_mul_f32_e32 v85, v21, v85                                // 000000005108: 0AAAAB15
	v_mul_f32_e32 v86, v21, v86                                // 00000000510C: 0AACAD15
	v_mul_f32_e32 v87, v21, v87                                // 000000005110: 0AAEAF15
	v_mul_f32_e32 v88, v21, v88                                // 000000005114: 0AB0B115
	v_mul_f32_e32 v89, v21, v89                                // 000000005118: 0AB2B315
	v_mul_f32_e32 v90, v21, v90                                // 00000000511C: 0AB4B515
	v_mul_f32_e32 v91, v21, v91                                // 000000005120: 0AB6B715
	v_mul_f32_e32 v92, v21, v92                                // 000000005124: 0AB8B915
	v_mul_f32_e32 v93, v21, v93                                // 000000005128: 0ABABB15
	v_mul_f32_e32 v94, v21, v94                                // 00000000512C: 0ABCBD15
	v_mul_f32_e32 v95, v21, v95                                // 000000005130: 0ABEBF15
	v_mul_f32_e32 v96, v21, v96                                // 000000005134: 0AC0C115
	s_waitcnt lgkmcnt(0)                                       // 000000005138: BF8CC07F
	s_barrier                                                  // 00000000513C: BF8A0000
	v_mfma_f32_32x32x64_f8f6f4 v[60:75], a[88:95], a[16:23], v[60:75]// 000000005140: D3AE003C 1CF22158
	ds_read_b128 v[44:47], v42 offset:1024                     // 000000005148: D9FE0400 2C00002A
	ds_read_b128 v[48:51], v42 offset:2048                     // 000000005150: D9FE0800 3000002A
	buffer_load_dwordx4 v217, s[20:23], 0 offen offset:320 lds // 000000005158: E05D1140 800500D9
	s_add_i32 m0, m0, 0x3c0                                    // 000000005160: 817CFF7C 000003C0
	v_mul_f32_e32 v97, v21, v97                                // 000000005168: 0AC2C315
	v_mul_f32_e32 v98, v21, v98                                // 00000000516C: 0AC4C515
	v_mul_f32_e32 v99, v21, v99                                // 000000005170: 0AC6C715
	v_mul_f32_e32 v100, v21, v100                              // 000000005174: 0AC8C915
	v_mul_f32_e32 v101, v21, v101                              // 000000005178: 0ACACB15
	v_mul_f32_e32 v102, v21, v102                              // 00000000517C: 0ACCCD15
	v_mul_f32_e32 v103, v21, v103                              // 000000005180: 0ACECF15
	v_mul_f32_e32 v104, v21, v104                              // 000000005184: 0AD0D115
	v_mul_f32_e32 v105, v21, v105                              // 000000005188: 0AD2D315
	v_mul_f32_e32 v106, v21, v106                              // 00000000518C: 0AD4D515
	v_mul_f32_e32 v107, v21, v107                              // 000000005190: 0AD6D715
	v_mul_f32_e32 v108, v21, v108                              // 000000005194: 0AD8D915
	v_add_u32_e32 v34, s73, v34                                // 000000005198: 68444449
	v_mfma_f32_32x32x64_f8f6f4 v[60:75], a[96:103], a[24:31], v[60:75]// 00000000519C: D3AE003C 1CF23160
	ds_read_b64_tr_b8 a[88:89], v9 offset:1024                 // 0000000051A4: DBC40400 58000009
	ds_read_b64_tr_b8 a[90:91], v10 offset:1024                // 0000000051AC: DBC40400 5A00000A
	ds_read_b64_tr_b8 a[92:93], v9 offset:19456                // 0000000051B4: DBC44C00 5C000009
	ds_read_b64_tr_b8 a[94:95], v10 offset:19456               // 0000000051BC: DBC44C00 5E00000A
	ds_read_b64_tr_b8 a[96:97], v11 offset:1024                // 0000000051C4: DBC40400 6000000B
	ds_read_b64_tr_b8 a[98:99], v12 offset:1024                // 0000000051CC: DBC40400 6200000C
	ds_read_b64_tr_b8 a[100:101], v11 offset:19456             // 0000000051D4: DBC44C00 6400000B
	ds_read_b64_tr_b8 a[102:103], v12 offset:19456             // 0000000051DC: DBC44C00 6600000C
	v_mul_f32_e32 v109, v21, v109                              // 0000000051E4: 0ADADB15
	v_mul_f32_e32 v110, v21, v110                              // 0000000051E8: 0ADCDD15
	v_mul_f32_e32 v111, v21, v111                              // 0000000051EC: 0ADEDF15
	v_mul_f32_e32 v112, v21, v112                              // 0000000051F0: 0AE0E115
	v_mul_f32_e32 v113, v21, v113                              // 0000000051F4: 0AE2E315
	v_mul_f32_e32 v114, v21, v114                              // 0000000051F8: 0AE4E515
	v_mul_f32_e32 v115, v21, v115                              // 0000000051FC: 0AE6E715
	v_mul_f32_e32 v116, v21, v116                              // 000000005200: 0AE8E915
	v_mul_f32_e32 v117, v21, v117                              // 000000005204: 0AEAEB15
	v_mul_f32_e32 v118, v21, v118                              // 000000005208: 0AECED15
	v_mul_f32_e32 v119, v21, v119                              // 00000000520C: 0AEEEF15
	v_mul_f32_e32 v120, v21, v120                              // 000000005210: 0AF0F115
	v_mfma_f32_32x32x64_f8f6f4 v[60:75], a[104:111], a[32:39], v[60:75]// 000000005214: D3AE003C 1CF24168
	buffer_load_dwordx4 v217, s[20:23], 0 offen offset:384 lds // 00000000521C: E05D1180 800500D9
	s_add_i32 m0, m0, 0x3c0                                    // 000000005224: 817CFF7C 000003C0
	v_mul_f32_e32 v121, v21, v121                              // 00000000522C: 0AF2F315
	v_mul_f32_e32 v122, v21, v122                              // 000000005230: 0AF4F515
	v_mul_f32_e32 v123, v21, v123                              // 000000005234: 0AF6F715
	v_mul_f32_e32 v124, v21, v124                              // 000000005238: 0AF8F915
	v_mul_f32_e32 v125, v21, v125                              // 00000000523C: 0AFAFB15
	v_mul_f32_e32 v126, v21, v126                              // 000000005240: 0AFCFD15
	v_mul_f32_e32 v127, v21, v127                              // 000000005244: 0AFEFF15
	v_mul_f32_e32 v128, v21, v128                              // 000000005248: 0B010115
	v_mul_f32_e32 v129, v21, v129                              // 00000000524C: 0B030315
	v_mul_f32_e32 v130, v21, v130                              // 000000005250: 0B050515
	v_mul_f32_e32 v131, v21, v131                              // 000000005254: 0B070715
	v_mul_f32_e32 v132, v21, v132                              // 000000005258: 0B090915
	v_mfma_f32_32x32x64_f8f6f4 v[60:75], a[112:119], a[40:47], v[60:75]// 00000000525C: D3AE003C 1CF25170
	s_waitcnt lgkmcnt(0)                                       // 000000005264: BF8CC07F
	ds_read_b64_tr_b8 a[104:105], v9 offset:2048               // 000000005268: DBC40800 68000009
	ds_read_b64_tr_b8 a[106:107], v10 offset:2048              // 000000005270: DBC40800 6A00000A
	ds_read_b64_tr_b8 a[108:109], v9 offset:20480              // 000000005278: DBC45000 6C000009
	ds_read_b64_tr_b8 a[110:111], v10 offset:20480             // 000000005280: DBC45000 6E00000A
	ds_read_b64_tr_b8 a[112:113], v11 offset:2048              // 000000005288: DBC40800 7000000B
	ds_read_b64_tr_b8 a[114:115], v12 offset:2048              // 000000005290: DBC40800 7200000C
	ds_read_b64_tr_b8 a[116:117], v11 offset:20480             // 000000005298: DBC45000 7400000B
	ds_read_b64_tr_b8 a[118:119], v12 offset:20480             // 0000000052A0: DBC45000 7600000C
	v_mul_f32_e32 v133, v21, v133                              // 0000000052A8: 0B0B0B15
	v_mul_f32_e32 v134, v21, v134                              // 0000000052AC: 0B0D0D15
	v_mul_f32_e32 v135, v21, v135                              // 0000000052B0: 0B0F0F15
	v_mul_f32_e32 v136, v21, v136                              // 0000000052B4: 0B111115
	v_mul_f32_e32 v137, v21, v137                              // 0000000052B8: 0B131315
	v_mul_f32_e32 v138, v21, v138                              // 0000000052BC: 0B151515
	v_mul_f32_e32 v139, v21, v139                              // 0000000052C0: 0B171715
	v_mfma_f32_32x32x64_f8f6f4 v[60:75], a[120:127], a[48:55], v[60:75]// 0000000052C4: D3AE003C 1CF26178
	buffer_load_dwordx4 v217, s[20:23], 0 offen offset:448 lds // 0000000052CC: E05D11C0 800500D9
	s_add_i32 m0, m0, 0x3c0                                    // 0000000052D4: 817CFF7C 000003C0
	v_permlane32_swap_b32_e32 v44, v46                         // 0000000052DC: 7E58B52E
	v_permlane32_swap_b32_e32 v45, v47                         // 0000000052E0: 7E5AB52F
	v_swap_b32 v45, v46                                        // 0000000052E4: 7E5AA32E
	v_permlane32_swap_b32_e32 v48, v50                         // 0000000052E8: 7E60B532
	v_permlane32_swap_b32_e32 v49, v51                         // 0000000052EC: 7E62B533
	v_swap_b32 v49, v50                                        // 0000000052F0: 7E62A332
	v_mfma_f32_32x32x64_f8f6f4 v[60:75], a[128:135], a[56:63], v[60:75]// 0000000052F4: D3AE003C 1CF27180
	ds_read_b64_tr_b8 a[120:121], v9 offset:3072               // 0000000052FC: DBC40C00 78000009
	ds_read_b64_tr_b8 a[122:123], v10 offset:3072              // 000000005304: DBC40C00 7A00000A
	ds_read_b64_tr_b8 a[124:125], v9 offset:21504              // 00000000530C: DBC45400 7C000009
	ds_read_b64_tr_b8 a[126:127], v10 offset:21504             // 000000005314: DBC45400 7E00000A
	ds_read_b64_tr_b8 a[128:129], v11 offset:3072              // 00000000531C: DBC40C00 8000000B
	ds_read_b64_tr_b8 a[130:131], v12 offset:3072              // 000000005324: DBC40C00 8200000C
	ds_read_b64_tr_b8 a[132:133], v11 offset:21504             // 00000000532C: DBC45400 8400000B
	ds_read_b64_tr_b8 a[134:135], v12 offset:21504             // 000000005334: DBC45400 8600000C
	v_mov_b32_e32 v36, v21                                     // 00000000533C: 7E480315
	v_mov_b32_e32 v37, v21                                     // 000000005340: 7E4A0315
	v_pk_mul_f32 v[140:141], v[36:37], v[140:141]              // 000000005344: D3B1408C 18031924
	v_pk_mul_f32 v[142:143], v[36:37], v[142:143]              // 00000000534C: D3B1408E 18031D24
	v_pk_mul_f32 v[144:145], v[36:37], v[144:145]              // 000000005354: D3B14090 18032124
	v_pk_mul_f32 v[146:147], v[36:37], v[146:147]              // 00000000535C: D3B14092 18032524
	v_pk_mul_f32 v[148:149], v[36:37], v[148:149]              // 000000005364: D3B14094 18032924
	v_pk_mul_f32 v[150:151], v[36:37], v[150:151]              // 00000000536C: D3B14096 18032D24
	v_pk_mul_f32 v[152:153], v[36:37], v[152:153]              // 000000005374: D3B14098 18033124
	v_pk_mul_f32 v[154:155], v[36:37], v[154:155]              // 00000000537C: D3B1409A 18033524
	v_pk_mul_f32 v[156:157], v[36:37], v[156:157]              // 000000005384: D3B1409C 18033924
	v_pk_mul_f32 v[158:159], v[36:37], v[158:159]              // 00000000538C: D3B1409E 18033D24
	v_pk_mul_f32 v[160:161], v[36:37], v[160:161]              // 000000005394: D3B140A0 18034124
	v_pk_mul_f32 v[162:163], v[36:37], v[162:163]              // 00000000539C: D3B140A2 18034524
	v_pk_mul_f32 v[164:165], v[36:37], v[164:165]              // 0000000053A4: D3B140A4 18034924
	v_pk_mul_f32 v[166:167], v[36:37], v[166:167]              // 0000000053AC: D3B140A6 18034D24
	v_pk_mul_f32 v[168:169], v[36:37], v[168:169]              // 0000000053B4: D3B140A8 18035124
	v_pk_mul_f32 v[170:171], v[36:37], v[170:171]              // 0000000053BC: D3B140AA 18035524
	v_pk_mul_f32 v[172:173], v[36:37], v[172:173]              // 0000000053C4: D3B140AC 18035924
	v_pk_mul_f32 v[174:175], v[36:37], v[174:175]              // 0000000053CC: D3B140AE 18035D24
	v_pk_mul_f32 v[176:177], v[36:37], v[176:177]              // 0000000053D4: D3B140B0 18036124
	v_pk_mul_f32 v[178:179], v[36:37], v[178:179]              // 0000000053DC: D3B140B2 18036524
	v_pk_mul_f32 v[180:181], v[36:37], v[180:181]              // 0000000053E4: D3B140B4 18036924
	v_pk_mul_f32 v[182:183], v[36:37], v[182:183]              // 0000000053EC: D3B140B6 18036D24
	v_pk_mul_f32 v[184:185], v[36:37], v[184:185]              // 0000000053F4: D3B140B8 18037124
	v_pk_mul_f32 v[186:187], v[36:37], v[186:187]              // 0000000053FC: D3B140BA 18037524
	v_pk_mul_f32 v[188:189], v[36:37], v[188:189]              // 000000005404: D3B140BC 18037924
	v_pk_mul_f32 v[190:191], v[36:37], v[190:191]              // 00000000540C: D3B140BE 18037D24
	v_pk_mul_f32 v[192:193], v[36:37], v[192:193]              // 000000005414: D3B140C0 18038124
	v_pk_mul_f32 v[194:195], v[36:37], v[194:195]              // 00000000541C: D3B140C2 18038524
	v_pk_mul_f32 v[196:197], v[36:37], v[196:197]              // 000000005424: D3B140C4 18038924
	v_pk_mul_f32 v[198:199], v[36:37], v[198:199]              // 00000000542C: D3B140C6 18038D24
	v_pk_mul_f32 v[200:201], v[36:37], v[200:201]              // 000000005434: D3B140C8 18039124
	v_pk_mul_f32 v[202:203], v[36:37], v[202:203]              // 00000000543C: D3B140CA 18039524
	v_mfma_f32_32x32x64_f8f6f4 v[60:75], a[136:143], a[64:71], v[60:75]// 000000005444: D3AE003C 1CF28188
	buffer_load_dwordx4 v217, s[20:23], 0 offen offset:512 lds // 00000000544C: E05D1200 800500D9
	s_add_i32 m0, m0, 0x3c0                                    // 000000005454: 817CFF7C 000003C0
	s_addk_i32 s70, 0x1                                        // 00000000545C: B7460001
	s_cmp_lt_i32 s70, s71                                      // 000000005460: BF044746
	s_cbranch_scc0 label_316C                                  // 000000005464: BF840001
	s_branch label_1498                                        // 000000005468: BF82F8CB

000000000000546c <label_316C>:
	s_nop 0                                                    // 00000000546C: BF800000
	s_nop 0                                                    // 000000005470: BF800000
	s_branch label_3754                                        // 000000005474: BF820177

0000000000005478 <label_3178>:
	v_mul_u32_u24_e64 v217, v30, s68                           // 000000005478: D10800D9 0000891E
	v_add_u32_e32 v217, v217, v1                               // 000000005480: 69B203D9
	s_waitcnt vmcnt(10)                                        // 000000005484: BF8C0F7A
	s_barrier                                                  // 000000005488: BF8A0000
	s_mov_b32 s56, 0xb000                                      // 00000000548C: BEB800FF 0000B000
	s_mul_i32 s57, s7, 0x2400                                  // 000000005494: 9239FF07 00002400
	s_add_u32 m0, s56, s57                                     // 00000000549C: 807C3938
	buffer_load_dwordx4 v217, s[20:23], 0 offen lds            // 0000000054A0: E05D1000 800500D9
	s_add_i32 m0, m0, 0x3c0                                    // 0000000054A8: 817CFF7C 000003C0
	buffer_load_dwordx4 v217, s[20:23], 0 offen offset:64 lds  // 0000000054B0: E05D1040 800500D9
	s_add_i32 m0, m0, 0x3c0                                    // 0000000054B8: 817CFF7C 000003C0
	buffer_load_dwordx4 v217, s[20:23], 0 offen offset:128 lds // 0000000054C0: E05D1080 800500D9
	s_add_i32 m0, m0, 0x3c0                                    // 0000000054C8: 817CFF7C 000003C0
	buffer_load_dwordx4 v217, s[20:23], 0 offen offset:192 lds // 0000000054D0: E05D10C0 800500D9
	s_add_i32 m0, m0, 0x3c0                                    // 0000000054D8: 817CFF7C 000003C0
	buffer_load_dwordx4 v217, s[20:23], 0 offen offset:256 lds // 0000000054E0: E05D1100 800500D9
	s_add_i32 m0, m0, 0x3c0                                    // 0000000054E8: 817CFF7C 000003C0
	buffer_load_dwordx4 v217, s[20:23], 0 offen offset:320 lds // 0000000054F0: E05D1140 800500D9
	s_add_i32 m0, m0, 0x3c0                                    // 0000000054F8: 817CFF7C 000003C0
	buffer_load_dwordx4 v217, s[20:23], 0 offen offset:384 lds // 000000005500: E05D1180 800500D9
	s_add_i32 m0, m0, 0x3c0                                    // 000000005508: 817CFF7C 000003C0
	buffer_load_dwordx4 v217, s[20:23], 0 offen offset:448 lds // 000000005510: E05D11C0 800500D9
	s_add_i32 m0, m0, 0x3c0                                    // 000000005518: 817CFF7C 000003C0
	buffer_load_dwordx4 v217, s[20:23], 0 offen offset:512 lds // 000000005520: E05D1200 800500D9
	s_add_i32 m0, m0, 0x3c0                                    // 000000005528: 817CFF7C 000003C0
	buffer_load_dword v32, v34, s[24:27], 0 offen              // 000000005530: E0501000 80062022
	v_add_u32_e32 v34, s73, v34                                // 000000005538: 68444449
	v_mov_b32_e32 v213, 0xff800000                             // 00000000553C: 7FAA02FF FF800000
	ds_write_b32 v41, v213                                     // 000000005544: D81A0000 0000D529
	s_waitcnt lgkmcnt(0)                                       // 00000000554C: BF8CC07F
	s_barrier                                                  // 000000005550: BF8A0000
	ds_read_b32 v35, v40                                       // 000000005554: D86C0000 23000028
	ds_read_b32 v36, v40 offset:256                            // 00000000555C: D86C0100 24000028
	s_waitcnt lgkmcnt(0)                                       // 000000005564: BF8CC07F
	s_barrier                                                  // 000000005568: BF8A0000
	s_addk_i32 s70, 0x1                                        // 00000000556C: B7460001
	s_cmp_lt_i32 s70, s71                                      // 000000005570: BF044746
	s_cbranch_scc0 label_316C                                  // 000000005574: BF84FFBD
	v_mul_u32_u24_e64 v217, v31, s68                           // 000000005578: D10800D9 0000891F
	v_add_u32_e32 v217, v217, v1                               // 000000005580: 69B203D9
	s_waitcnt vmcnt(10)                                        // 000000005584: BF8C0F7A
	s_barrier                                                  // 000000005588: BF8A0000
	s_mov_b32 s56, 0x14000                                     // 00000000558C: BEB800FF 00014000
	s_mul_i32 s57, s7, 0x2400                                  // 000000005594: 9239FF07 00002400
	s_add_u32 m0, s56, s57                                     // 00000000559C: 807C3938
	buffer_load_dwordx4 v217, s[20:23], 0 offen lds            // 0000000055A0: E05D1000 800500D9
	s_add_i32 m0, m0, 0x3c0                                    // 0000000055A8: 817CFF7C 000003C0
	buffer_load_dwordx4 v217, s[20:23], 0 offen offset:64 lds  // 0000000055B0: E05D1040 800500D9
	s_add_i32 m0, m0, 0x3c0                                    // 0000000055B8: 817CFF7C 000003C0
	buffer_load_dwordx4 v217, s[20:23], 0 offen offset:128 lds // 0000000055C0: E05D1080 800500D9
	s_add_i32 m0, m0, 0x3c0                                    // 0000000055C8: 817CFF7C 000003C0
	buffer_load_dwordx4 v217, s[20:23], 0 offen offset:192 lds // 0000000055D0: E05D10C0 800500D9
	s_add_i32 m0, m0, 0x3c0                                    // 0000000055D8: 817CFF7C 000003C0
	buffer_load_dwordx4 v217, s[20:23], 0 offen offset:256 lds // 0000000055E0: E05D1100 800500D9
	s_add_i32 m0, m0, 0x3c0                                    // 0000000055E8: 817CFF7C 000003C0
	buffer_load_dwordx4 v217, s[20:23], 0 offen offset:320 lds // 0000000055F0: E05D1140 800500D9
	s_add_i32 m0, m0, 0x3c0                                    // 0000000055F8: 817CFF7C 000003C0
	buffer_load_dwordx4 v217, s[20:23], 0 offen offset:384 lds // 000000005600: E05D1180 800500D9
	s_add_i32 m0, m0, 0x3c0                                    // 000000005608: 817CFF7C 000003C0
	buffer_load_dwordx4 v217, s[20:23], 0 offen offset:448 lds // 000000005610: E05D11C0 800500D9
	s_add_i32 m0, m0, 0x3c0                                    // 000000005618: 817CFF7C 000003C0
	buffer_load_dwordx4 v217, s[20:23], 0 offen offset:512 lds // 000000005620: E05D1200 800500D9
	s_add_i32 m0, m0, 0x3c0                                    // 000000005628: 817CFF7C 000003C0
	buffer_load_dword v33, v34, s[24:27], 0 offen              // 000000005630: E0501000 80062122
	v_add_u32_e32 v34, s73, v34                                // 000000005638: 68444449
	v_mov_b32_e32 v213, 0xff800000                             // 00000000563C: 7FAA02FF FF800000
	ds_write_b32 v41, v213                                     // 000000005644: D81A0000 0000D529
	s_waitcnt lgkmcnt(0)                                       // 00000000564C: BF8CC07F
	s_barrier                                                  // 000000005650: BF8A0000
	ds_read_b32 v35, v40                                       // 000000005654: D86C0000 23000028
	ds_read_b32 v36, v40 offset:256                            // 00000000565C: D86C0100 24000028
	s_waitcnt lgkmcnt(0)                                       // 000000005664: BF8CC07F
	s_barrier                                                  // 000000005668: BF8A0000
	s_addk_i32 s70, 0x1                                        // 00000000566C: B7460001
	s_cmp_lt_i32 s70, s71                                      // 000000005670: BF044746
	s_cbranch_scc0 label_316C                                  // 000000005674: BF84FF7D
	v_mul_u32_u24_e64 v217, v32, s68                           // 000000005678: D10800D9 00008920
	v_add_u32_e32 v217, v217, v1                               // 000000005680: 69B203D9
	s_waitcnt vmcnt(10)                                        // 000000005684: BF8C0F7A
	s_barrier                                                  // 000000005688: BF8A0000
	s_mov_b32 s56, 0x1d000                                     // 00000000568C: BEB800FF 0001D000
	s_mul_i32 s57, s7, 0x2400                                  // 000000005694: 9239FF07 00002400
	s_add_u32 m0, s56, s57                                     // 00000000569C: 807C3938
	buffer_load_dwordx4 v217, s[20:23], 0 offen lds            // 0000000056A0: E05D1000 800500D9
	s_add_i32 m0, m0, 0x3c0                                    // 0000000056A8: 817CFF7C 000003C0
	buffer_load_dwordx4 v217, s[20:23], 0 offen offset:64 lds  // 0000000056B0: E05D1040 800500D9
	s_add_i32 m0, m0, 0x3c0                                    // 0000000056B8: 817CFF7C 000003C0
	buffer_load_dwordx4 v217, s[20:23], 0 offen offset:128 lds // 0000000056C0: E05D1080 800500D9
	s_add_i32 m0, m0, 0x3c0                                    // 0000000056C8: 817CFF7C 000003C0
	buffer_load_dwordx4 v217, s[20:23], 0 offen offset:192 lds // 0000000056D0: E05D10C0 800500D9
	s_add_i32 m0, m0, 0x3c0                                    // 0000000056D8: 817CFF7C 000003C0
	buffer_load_dwordx4 v217, s[20:23], 0 offen offset:256 lds // 0000000056E0: E05D1100 800500D9
	s_add_i32 m0, m0, 0x3c0                                    // 0000000056E8: 817CFF7C 000003C0
	buffer_load_dwordx4 v217, s[20:23], 0 offen offset:320 lds // 0000000056F0: E05D1140 800500D9
	s_add_i32 m0, m0, 0x3c0                                    // 0000000056F8: 817CFF7C 000003C0
	buffer_load_dwordx4 v217, s[20:23], 0 offen offset:384 lds // 000000005700: E05D1180 800500D9
	s_add_i32 m0, m0, 0x3c0                                    // 000000005708: 817CFF7C 000003C0
	buffer_load_dwordx4 v217, s[20:23], 0 offen offset:448 lds // 000000005710: E05D11C0 800500D9
	s_add_i32 m0, m0, 0x3c0                                    // 000000005718: 817CFF7C 000003C0
	buffer_load_dwordx4 v217, s[20:23], 0 offen offset:512 lds // 000000005720: E05D1200 800500D9
	s_add_i32 m0, m0, 0x3c0                                    // 000000005728: 817CFF7C 000003C0
	buffer_load_dword v30, v34, s[24:27], 0 offen              // 000000005730: E0501000 80061E22
	v_add_u32_e32 v34, s73, v34                                // 000000005738: 68444449
	v_mov_b32_e32 v213, 0xff800000                             // 00000000573C: 7FAA02FF FF800000
	ds_write_b32 v41, v213                                     // 000000005744: D81A0000 0000D529
	s_waitcnt lgkmcnt(0)                                       // 00000000574C: BF8CC07F
	s_barrier                                                  // 000000005750: BF8A0000
	ds_read_b32 v35, v40                                       // 000000005754: D86C0000 23000028
	ds_read_b32 v36, v40 offset:256                            // 00000000575C: D86C0100 24000028
	s_waitcnt lgkmcnt(0)                                       // 000000005764: BF8CC07F
	s_barrier                                                  // 000000005768: BF8A0000
	s_addk_i32 s70, 0x1                                        // 00000000576C: B7460001
	s_cmp_lt_i32 s70, s71                                      // 000000005770: BF044746
	s_cbranch_scc0 label_316C                                  // 000000005774: BF84FF3D
	v_mul_u32_u24_e64 v217, v33, s68                           // 000000005778: D10800D9 00008921
	v_add_u32_e32 v217, v217, v1                               // 000000005780: 69B203D9
	s_waitcnt vmcnt(10)                                        // 000000005784: BF8C0F7A
	s_barrier                                                  // 000000005788: BF8A0000
	s_mov_b32 s56, 0x2000                                      // 00000000578C: BEB800FF 00002000
	s_mul_i32 s57, s7, 0x2400                                  // 000000005794: 9239FF07 00002400
	s_add_u32 m0, s56, s57                                     // 00000000579C: 807C3938
	buffer_load_dwordx4 v217, s[20:23], 0 offen lds            // 0000000057A0: E05D1000 800500D9
	s_add_i32 m0, m0, 0x3c0                                    // 0000000057A8: 817CFF7C 000003C0
	buffer_load_dwordx4 v217, s[20:23], 0 offen offset:64 lds  // 0000000057B0: E05D1040 800500D9
	s_add_i32 m0, m0, 0x3c0                                    // 0000000057B8: 817CFF7C 000003C0
	buffer_load_dwordx4 v217, s[20:23], 0 offen offset:128 lds // 0000000057C0: E05D1080 800500D9
	s_add_i32 m0, m0, 0x3c0                                    // 0000000057C8: 817CFF7C 000003C0
	buffer_load_dwordx4 v217, s[20:23], 0 offen offset:192 lds // 0000000057D0: E05D10C0 800500D9
	s_add_i32 m0, m0, 0x3c0                                    // 0000000057D8: 817CFF7C 000003C0
	buffer_load_dwordx4 v217, s[20:23], 0 offen offset:256 lds // 0000000057E0: E05D1100 800500D9
	s_add_i32 m0, m0, 0x3c0                                    // 0000000057E8: 817CFF7C 000003C0
	buffer_load_dwordx4 v217, s[20:23], 0 offen offset:320 lds // 0000000057F0: E05D1140 800500D9
	s_add_i32 m0, m0, 0x3c0                                    // 0000000057F8: 817CFF7C 000003C0
	buffer_load_dwordx4 v217, s[20:23], 0 offen offset:384 lds // 000000005800: E05D1180 800500D9
	s_add_i32 m0, m0, 0x3c0                                    // 000000005808: 817CFF7C 000003C0
	buffer_load_dwordx4 v217, s[20:23], 0 offen offset:448 lds // 000000005810: E05D11C0 800500D9
	s_add_i32 m0, m0, 0x3c0                                    // 000000005818: 817CFF7C 000003C0
	buffer_load_dwordx4 v217, s[20:23], 0 offen offset:512 lds // 000000005820: E05D1200 800500D9
	s_add_i32 m0, m0, 0x3c0                                    // 000000005828: 817CFF7C 000003C0
	buffer_load_dword v31, v34, s[24:27], 0 offen              // 000000005830: E0501000 80061F22
	v_add_u32_e32 v34, s73, v34                                // 000000005838: 68444449
	v_mov_b32_e32 v213, 0xff800000                             // 00000000583C: 7FAA02FF FF800000
	ds_write_b32 v41, v213                                     // 000000005844: D81A0000 0000D529
	s_waitcnt lgkmcnt(0)                                       // 00000000584C: BF8CC07F
	s_barrier                                                  // 000000005850: BF8A0000
	ds_read_b32 v35, v40                                       // 000000005854: D86C0000 23000028
	ds_read_b32 v36, v40 offset:256                            // 00000000585C: D86C0100 24000028
	s_waitcnt lgkmcnt(0)                                       // 000000005864: BF8CC07F
	s_barrier                                                  // 000000005868: BF8A0000
	s_addk_i32 s70, 0x1                                        // 00000000586C: B7460001
	s_cmp_lt_i32 s70, s71                                      // 000000005870: BF044746
	s_cbranch_scc0 label_316C                                  // 000000005874: BF84FEFD
	s_branch label_3178                                        // 000000005878: BF82FEFF

000000000000587c <label_357C>:
	ds_read_b64_tr_b8 a[72:73], v9                             // 00000000587C: DBC40000 48000009
	ds_read_b64_tr_b8 a[74:75], v10                            // 000000005884: DBC40000 4A00000A
	ds_read_b64_tr_b8 a[76:77], v9 offset:18432                // 00000000588C: DBC44800 4C000009
	ds_read_b64_tr_b8 a[78:79], v10 offset:18432               // 000000005894: DBC44800 4E00000A
	ds_read_b64_tr_b8 a[80:81], v11                            // 00000000589C: DBC40000 5000000B
	ds_read_b64_tr_b8 a[82:83], v12                            // 0000000058A4: DBC40000 5200000C
	ds_read_b64_tr_b8 a[84:85], v11 offset:18432               // 0000000058AC: DBC44800 5400000B
	ds_read_b64_tr_b8 a[86:87], v12 offset:18432               // 0000000058B4: DBC44800 5600000C
	ds_read_b64_tr_b8 a[88:89], v9 offset:1024                 // 0000000058BC: DBC40400 58000009
	ds_read_b64_tr_b8 a[90:91], v10 offset:1024                // 0000000058C4: DBC40400 5A00000A
	ds_read_b64_tr_b8 a[92:93], v9 offset:19456                // 0000000058CC: DBC44C00 5C000009
	ds_read_b64_tr_b8 a[94:95], v10 offset:19456               // 0000000058D4: DBC44C00 5E00000A
	ds_read_b64_tr_b8 a[96:97], v11 offset:1024                // 0000000058DC: DBC40400 6000000B
	ds_read_b64_tr_b8 a[98:99], v12 offset:1024                // 0000000058E4: DBC40400 6200000C
	ds_read_b64_tr_b8 a[100:101], v11 offset:19456             // 0000000058EC: DBC44C00 6400000B
	ds_read_b64_tr_b8 a[102:103], v12 offset:19456             // 0000000058F4: DBC44C00 6600000C
	ds_read_b64_tr_b8 a[104:105], v9 offset:2048               // 0000000058FC: DBC40800 68000009
	ds_read_b64_tr_b8 a[106:107], v10 offset:2048              // 000000005904: DBC40800 6A00000A
	ds_read_b64_tr_b8 a[108:109], v9 offset:20480              // 00000000590C: DBC45000 6C000009
	ds_read_b64_tr_b8 a[110:111], v10 offset:20480             // 000000005914: DBC45000 6E00000A
	ds_read_b64_tr_b8 a[112:113], v11 offset:2048              // 00000000591C: DBC40800 7000000B
	ds_read_b64_tr_b8 a[114:115], v12 offset:2048              // 000000005924: DBC40800 7200000C
	ds_read_b64_tr_b8 a[116:117], v11 offset:20480             // 00000000592C: DBC45000 7400000B
	ds_read_b64_tr_b8 a[118:119], v12 offset:20480             // 000000005934: DBC45000 7600000C
	ds_read_b64_tr_b8 a[120:121], v9 offset:3072               // 00000000593C: DBC40C00 78000009
	ds_read_b64_tr_b8 a[122:123], v10 offset:3072              // 000000005944: DBC40C00 7A00000A
	ds_read_b64_tr_b8 a[124:125], v9 offset:21504              // 00000000594C: DBC45400 7C000009
	ds_read_b64_tr_b8 a[126:127], v10 offset:21504             // 000000005954: DBC45400 7E00000A
	ds_read_b64_tr_b8 a[128:129], v11 offset:3072              // 00000000595C: DBC40C00 8000000B
	ds_read_b64_tr_b8 a[130:131], v12 offset:3072              // 000000005964: DBC40C00 8200000C
	ds_read_b64_tr_b8 a[132:133], v11 offset:21504             // 00000000596C: DBC45400 8400000B
	ds_read_b64_tr_b8 a[134:135], v12 offset:21504             // 000000005974: DBC45400 8600000C
	s_waitcnt lgkmcnt(4)                                       // 00000000597C: BF8CC47F
	v_mfma_f32_32x32x64_f8f6f4 v[76:91], a[72:79], v[44:51], v[76:91]// 000000005980: D3AE004C 0D325948
	ds_read_b128 a[72:75], v26                                 // 000000005988: DBFE0000 4800001A
	ds_read_b128 a[76:79], v27                                 // 000000005990: DBFE0000 4C00001B
	v_mfma_f32_32x32x64_f8f6f4 v[92:107], a[80:87], v[44:51], v[92:107]// 000000005998: D3AE005C 0D725950
	ds_read_b128 a[80:83], v26 offset:1024                     // 0000000059A0: DBFE0400 5000001A
	ds_read_b128 a[84:87], v27 offset:1024                     // 0000000059A8: DBFE0400 5400001B
	v_mfma_f32_32x32x64_f8f6f4 v[108:123], a[88:95], v[44:51], v[108:123]// 0000000059B0: D3AE006C 0DB25958
	ds_read_b128 a[88:91], v26 offset:2048                     // 0000000059B8: DBFE0800 5800001A
	ds_read_b128 a[92:95], v27 offset:2048                     // 0000000059C0: DBFE0800 5C00001B
	v_mfma_f32_32x32x64_f8f6f4 v[124:139], a[96:103], v[44:51], v[124:139]// 0000000059C8: D3AE007C 0DF25960
	ds_read_b128 a[96:99], v26 offset:3072                     // 0000000059D0: DBFE0C00 6000001A
	ds_read_b128 a[100:103], v27 offset:3072                   // 0000000059D8: DBFE0C00 6400001B
	v_mfma_f32_32x32x64_f8f6f4 v[140:155], a[104:111], v[44:51], v[140:155]// 0000000059E0: D3AE008C 0E325968
	ds_read_b128 a[104:107], v26 offset:4096                   // 0000000059E8: DBFE1000 6800001A
	ds_read_b128 a[108:111], v27 offset:4096                   // 0000000059F0: DBFE1000 6C00001B
	v_mfma_f32_32x32x64_f8f6f4 v[156:171], a[112:119], v[44:51], v[156:171]// 0000000059F8: D3AE009C 0E725970
	ds_read_b128 a[112:115], v26 offset:5120                   // 000000005A00: DBFE1400 7000001A
	ds_read_b128 a[116:119], v27 offset:5120                   // 000000005A08: DBFE1400 7400001B
	v_mfma_f32_32x32x64_f8f6f4 v[172:187], a[120:127], v[44:51], v[172:187]// 000000005A10: D3AE00AC 0EB25978
	ds_read_b128 a[120:123], v26 offset:6144                   // 000000005A18: DBFE1800 7800001A
	ds_read_b128 a[124:127], v27 offset:6144                   // 000000005A20: DBFE1800 7C00001B
	v_mfma_f32_32x32x64_f8f6f4 v[188:203], a[128:135], v[44:51], v[188:203]// 000000005A28: D3AE00BC 0EF25980
	ds_read_b128 a[128:131], v26 offset:7168                   // 000000005A30: DBFE1C00 8000001A
	ds_read_b128 a[132:135], v27 offset:7168                   // 000000005A38: DBFE1C00 8400001B
	ds_read_b128 a[136:139], v26 offset:8192                   // 000000005A40: DBFE2000 8800001A
	ds_read_b128 a[140:143], v27 offset:8192                   // 000000005A48: DBFE2000 8C00001B
	s_branch label_5CB8                                        // 000000005A50: BF820959

0000000000005a54 <label_3754>:
	s_and_b32 s56, 3, s71                                      // 000000005A54: 86384783
	s_cmp_eq_i32 s56, 1                                        // 000000005A58: BF008138
	s_cbranch_scc1 label_3778                                  // 000000005A5C: BF850006
	s_cmp_eq_i32 s56, 2                                        // 000000005A60: BF008238
	s_cbranch_scc1 label_40C8                                  // 000000005A64: BF850258
	s_cmp_eq_i32 s56, 3                                        // 000000005A68: BF008338
	s_cbranch_scc1 label_4A18                                  // 000000005A6C: BF8504AA
	s_cmp_eq_i32 s56, 0                                        // 000000005A70: BF008038
	s_cbranch_scc1 label_5368                                  // 000000005A74: BF8506FC

0000000000005a78 <label_3778>:
	s_mov_b32 s56, 64                                          // 000000005A78: BEB800C0
	s_mul_i32 s83, s56, s71                                    // 000000005A7C: 92534738
	s_cmp_le_i32 s83, s82                                      // 000000005A80: BF055253
	s_cbranch_scc1 label_3954                                  // 000000005A84: BF850073
	v_and_b32_e32 v35, 31, v0                                  // 000000005A88: 2646009F
	v_lshrrev_b32_e32 v35, 3, v35                              // 000000005A8C: 20464683
	v_add_u32_e32 v35, s82, v35                                // 000000005A90: 68464652
	s_and_b32 s56, 2, s7                                       // 000000005A94: 86380782
	s_lshl_b32 s56, s56, 1                                     // 000000005A98: 8E388138
	v_add_u32_e32 v35, s56, v35                                // 000000005A9C: 68464638
	s_sub_u32 s56, s83, 64                                     // 000000005AA0: 80B8C053
	v_lshrrev_b32_e32 v204, 5, v0                              // 000000005AA4: 21980085
	v_mul_i32_i24_e32 v204, 4, v204                            // 000000005AA8: 0D999884
	v_add_u32_e32 v204, s56, v204                              // 000000005AAC: 69999838
	s_and_b32 s56, s7, 1                                       // 000000005AB0: 86388107
	s_mov_b32 s57, 32                                          // 000000005AB4: BEB900A0
	s_mul_i32 s56, s57, s56                                    // 000000005AB8: 92383839
	v_add_u32_e32 v204, s56, v204                              // 000000005ABC: 69999838
	v_add_u32_e32 v205, 1, v204                                // 000000005AC0: 699B9881
	v_add_u32_e32 v206, 2, v204                                // 000000005AC4: 699D9882
	v_add_u32_e32 v207, 3, v204                                // 000000005AC8: 699F9883
	v_mov_b32_e32 v37, 0xff800000                              // 000000005ACC: 7E4A02FF FF800000
	v_cmp_le_i32_e64 s[36:37], v204, v35                       // 000000005AD4: D0C30024 000247CC
	s_nop 0                                                    // 000000005ADC: BF800000
	v_cndmask_b32_e64 v44, v37, v44, s[36:37]                  // 000000005AE0: D100002C 00925925
	v_add_u32_e32 v204, 8, v204                                // 000000005AE8: 69999888
	v_cmp_le_i32_e64 s[36:37], v205, v35                       // 000000005AEC: D0C30024 000247CD
	s_nop 0                                                    // 000000005AF4: BF800000
	v_cndmask_b32_e64 v45, v37, v45, s[36:37]                  // 000000005AF8: D100002D 00925B25
	v_add_u32_e32 v205, 8, v205                                // 000000005B00: 699B9A88
	v_cmp_le_i32_e64 s[36:37], v206, v35                       // 000000005B04: D0C30024 000247CE
	s_nop 0                                                    // 000000005B0C: BF800000
	v_cndmask_b32_e64 v46, v37, v46, s[36:37]                  // 000000005B10: D100002E 00925D25
	v_add_u32_e32 v206, 8, v206                                // 000000005B18: 699D9C88
	v_cmp_le_i32_e64 s[36:37], v207, v35                       // 000000005B1C: D0C30024 000247CF
	s_nop 0                                                    // 000000005B24: BF800000
	v_cndmask_b32_e64 v47, v37, v47, s[36:37]                  // 000000005B28: D100002F 00925F25
	v_add_u32_e32 v207, 8, v207                                // 000000005B30: 699F9E88
	v_cmp_le_i32_e64 s[36:37], v204, v35                       // 000000005B34: D0C30024 000247CC
	s_nop 0                                                    // 000000005B3C: BF800000
	v_cndmask_b32_e64 v48, v37, v48, s[36:37]                  // 000000005B40: D1000030 00926125
	v_add_u32_e32 v204, 8, v204                                // 000000005B48: 69999888
	v_cmp_le_i32_e64 s[36:37], v205, v35                       // 000000005B4C: D0C30024 000247CD
	s_nop 0                                                    // 000000005B54: BF800000
	v_cndmask_b32_e64 v49, v37, v49, s[36:37]                  // 000000005B58: D1000031 00926325
	v_add_u32_e32 v205, 8, v205                                // 000000005B60: 699B9A88
	v_cmp_le_i32_e64 s[36:37], v206, v35                       // 000000005B64: D0C30024 000247CE
	s_nop 0                                                    // 000000005B6C: BF800000
	v_cndmask_b32_e64 v50, v37, v50, s[36:37]                  // 000000005B70: D1000032 00926525
	v_add_u32_e32 v206, 8, v206                                // 000000005B78: 699D9C88
	v_cmp_le_i32_e64 s[36:37], v207, v35                       // 000000005B7C: D0C30024 000247CF
	s_nop 0                                                    // 000000005B84: BF800000
	v_cndmask_b32_e64 v51, v37, v51, s[36:37]                  // 000000005B88: D1000033 00926725
	v_add_u32_e32 v207, 8, v207                                // 000000005B90: 699F9E88
	v_cmp_le_i32_e64 s[36:37], v204, v35                       // 000000005B94: D0C30024 000247CC
	s_nop 0                                                    // 000000005B9C: BF800000
	v_cndmask_b32_e64 v52, v37, v52, s[36:37]                  // 000000005BA0: D1000034 00926925
	v_add_u32_e32 v204, 8, v204                                // 000000005BA8: 69999888
	v_cmp_le_i32_e64 s[36:37], v205, v35                       // 000000005BAC: D0C30024 000247CD
	s_nop 0                                                    // 000000005BB4: BF800000
	v_cndmask_b32_e64 v53, v37, v53, s[36:37]                  // 000000005BB8: D1000035 00926B25
	v_add_u32_e32 v205, 8, v205                                // 000000005BC0: 699B9A88
	v_cmp_le_i32_e64 s[36:37], v206, v35                       // 000000005BC4: D0C30024 000247CE
	s_nop 0                                                    // 000000005BCC: BF800000
	v_cndmask_b32_e64 v54, v37, v54, s[36:37]                  // 000000005BD0: D1000036 00926D25
	v_add_u32_e32 v206, 8, v206                                // 000000005BD8: 699D9C88
	v_cmp_le_i32_e64 s[36:37], v207, v35                       // 000000005BDC: D0C30024 000247CF
	s_nop 0                                                    // 000000005BE4: BF800000
	v_cndmask_b32_e64 v55, v37, v55, s[36:37]                  // 000000005BE8: D1000037 00926F25
	v_add_u32_e32 v207, 8, v207                                // 000000005BF0: 699F9E88
	v_cmp_le_i32_e64 s[36:37], v204, v35                       // 000000005BF4: D0C30024 000247CC
	s_nop 0                                                    // 000000005BFC: BF800000
	v_cndmask_b32_e64 v56, v37, v56, s[36:37]                  // 000000005C00: D1000038 00927125
	v_add_u32_e32 v204, 8, v204                                // 000000005C08: 69999888
	v_cmp_le_i32_e64 s[36:37], v205, v35                       // 000000005C0C: D0C30024 000247CD
	s_nop 0                                                    // 000000005C14: BF800000
	v_cndmask_b32_e64 v57, v37, v57, s[36:37]                  // 000000005C18: D1000039 00927325
	v_add_u32_e32 v205, 8, v205                                // 000000005C20: 699B9A88
	v_cmp_le_i32_e64 s[36:37], v206, v35                       // 000000005C24: D0C30024 000247CE
	s_nop 0                                                    // 000000005C2C: BF800000
	v_cndmask_b32_e64 v58, v37, v58, s[36:37]                  // 000000005C30: D100003A 00927525
	v_add_u32_e32 v206, 8, v206                                // 000000005C38: 699D9C88
	v_cmp_le_i32_e64 s[36:37], v207, v35                       // 000000005C3C: D0C30024 000247CF
	s_nop 0                                                    // 000000005C44: BF800000
	v_cndmask_b32_e64 v59, v37, v59, s[36:37]                  // 000000005C48: D100003B 00927725
	v_add_u32_e32 v207, 8, v207                                // 000000005C50: 699F9E88

0000000000005c54 <label_3954>:
	s_add_u32 s83, s84, s83                                    // 000000005C54: 80535354
	s_nop 2                                                    // 000000005C58: BF800002
	v_mov_b32_e32 v213, v44                                    // 000000005C5C: 7FAA032C
	v_max3_f32 v213, v44, v45, v213                            // 000000005C60: D1D300D5 07565B2C
	v_max3_f32 v213, v46, v47, v213                            // 000000005C68: D1D300D5 07565F2E
	v_max3_f32 v213, v48, v49, v213                            // 000000005C70: D1D300D5 07566330
	v_max3_f32 v213, v50, v51, v213                            // 000000005C78: D1D300D5 07566732
	v_max3_f32 v213, v52, v53, v213                            // 000000005C80: D1D300D5 07566B34
	v_max3_f32 v213, v54, v55, v213                            // 000000005C88: D1D300D5 07566F36
	v_max3_f32 v213, v56, v57, v213                            // 000000005C90: D1D300D5 07567338
	v_max3_f32 v213, v58, v59, v213                            // 000000005C98: D1D300D5 0756773A
	v_mov_b32_e32 v35, v213                                    // 000000005CA0: 7E4603D5
	v_mov_b32_e32 v36, v213                                    // 000000005CA4: 7E4803D5
	s_nop 1                                                    // 000000005CA8: BF800001
	v_permlane32_swap_b32_e32 v35, v36                         // 000000005CAC: 7E46B524
	v_max3_f32 v213, v35, v36, v213                            // 000000005CB0: D1D300D5 07564923
	ds_write_b32 v41, v213                                     // 000000005CB8: D81A0000 0000D529
	s_waitcnt lgkmcnt(0)                                       // 000000005CC0: BF8CC07F
	s_barrier                                                  // 000000005CC4: BF8A0000
	ds_read_b32 v35, v40                                       // 000000005CC8: D86C0000 23000028
	ds_read_b32 v36, v40 offset:256                            // 000000005CD0: D86C0100 24000028
	s_waitcnt lgkmcnt(0)                                       // 000000005CD8: BF8CC07F
	v_max3_f32 v213, v35, v36, v213                            // 000000005CDC: D1D300D5 07564923
	v_mov_b32_e32 v35, 0xff800000                              // 000000005CE4: 7E4602FF FF800000
	v_cmp_eq_u32_e64 s[36:37], v35, v2                         // 000000005CEC: D0CA0024 00020523
	v_max_f32_e32 v216, v213, v2                               // 000000005CF4: 17B005D5
	v_sub_f32_e32 v21, v2, v216                                // 000000005CF8: 042BB102
	v_cndmask_b32_e64 v21, v21, 0, s[36:37]                    // 000000005CFC: D1000015 00910115
	v_mov_b32_e32 v2, v216                                     // 000000005D04: 7E0403D8
	v_mul_f32_e32 v212, s5, v216                               // 000000005D08: 0BA9B005
	v_mul_f32_e32 v21, s5, v21                                 // 000000005D0C: 0A2A2A05
	v_exp_f32_e32 v21, v21                                     // 000000005D10: 7E2A4115
	v_fma_f32 v44, v44, s5, -v212                              // 000000005D14: D1CB002C 87500B2C
	v_fma_f32 v45, v45, s5, -v212                              // 000000005D1C: D1CB002D 87500B2D
	v_fma_f32 v46, v46, s5, -v212                              // 000000005D24: D1CB002E 87500B2E
	v_fma_f32 v47, v47, s5, -v212                              // 000000005D2C: D1CB002F 87500B2F
	v_fma_f32 v48, v48, s5, -v212                              // 000000005D34: D1CB0030 87500B30
	v_fma_f32 v49, v49, s5, -v212                              // 000000005D3C: D1CB0031 87500B31
	v_fma_f32 v50, v50, s5, -v212                              // 000000005D44: D1CB0032 87500B32
	v_fma_f32 v51, v51, s5, -v212                              // 000000005D4C: D1CB0033 87500B33
	v_fma_f32 v52, v52, s5, -v212                              // 000000005D54: D1CB0034 87500B34
	v_fma_f32 v53, v53, s5, -v212                              // 000000005D5C: D1CB0035 87500B35
	v_fma_f32 v54, v54, s5, -v212                              // 000000005D64: D1CB0036 87500B36
	v_fma_f32 v55, v55, s5, -v212                              // 000000005D6C: D1CB0037 87500B37
	v_fma_f32 v56, v56, s5, -v212                              // 000000005D74: D1CB0038 87500B38
	v_fma_f32 v57, v57, s5, -v212                              // 000000005D7C: D1CB0039 87500B39
	v_fma_f32 v58, v58, s5, -v212                              // 000000005D84: D1CB003A 87500B3A
	v_fma_f32 v59, v59, s5, -v212                              // 000000005D8C: D1CB003B 87500B3B
	v_mov_b32_e32 v35, 0xffc00000                              // 000000005D94: 7E4602FF FFC00000
	v_exp_f32_e32 v44, v44                                     // 000000005D9C: 7E58412C
	v_exp_f32_e32 v45, v45                                     // 000000005DA0: 7E5A412D
	v_exp_f32_e32 v46, v46                                     // 000000005DA4: 7E5C412E
	v_exp_f32_e32 v47, v47                                     // 000000005DA8: 7E5E412F
	v_exp_f32_e32 v48, v48                                     // 000000005DAC: 7E604130
	v_exp_f32_e32 v49, v49                                     // 000000005DB0: 7E624131
	v_exp_f32_e32 v50, v50                                     // 000000005DB4: 7E644132
	v_exp_f32_e32 v51, v51                                     // 000000005DB8: 7E664133
	v_exp_f32_e32 v52, v52                                     // 000000005DBC: 7E684134
	v_exp_f32_e32 v53, v53                                     // 000000005DC0: 7E6A4135
	v_exp_f32_e32 v54, v54                                     // 000000005DC4: 7E6C4136
	v_exp_f32_e32 v55, v55                                     // 000000005DC8: 7E6E4137
	v_exp_f32_e32 v56, v56                                     // 000000005DCC: 7E704138
	v_exp_f32_e32 v57, v57                                     // 000000005DD0: 7E724139
	v_exp_f32_e32 v58, v58                                     // 000000005DD4: 7E74413A
	v_exp_f32_e32 v59, v59                                     // 000000005DD8: 7E76413B
	v_mul_f32_e32 v4, v21, v4                                  // 000000005DDC: 0A080915
	v_mov_b32_e32 v35, v44                                     // 000000005DE0: 7E46032C
	v_add_f32_e32 v35, v45, v35                                // 000000005DE4: 0246472D
	v_add_f32_e32 v35, v46, v35                                // 000000005DE8: 0246472E
	v_add_f32_e32 v35, v47, v35                                // 000000005DEC: 0246472F
	v_add_f32_e32 v35, v48, v35                                // 000000005DF0: 02464730
	v_add_f32_e32 v35, v49, v35                                // 000000005DF4: 02464731
	v_add_f32_e32 v35, v50, v35                                // 000000005DF8: 02464732
	v_add_f32_e32 v35, v51, v35                                // 000000005DFC: 02464733
	v_add_f32_e32 v35, v52, v35                                // 000000005E00: 02464734
	v_add_f32_e32 v35, v53, v35                                // 000000005E04: 02464735
	v_add_f32_e32 v35, v54, v35                                // 000000005E08: 02464736
	v_add_f32_e32 v35, v55, v35                                // 000000005E0C: 02464737
	v_add_f32_e32 v35, v56, v35                                // 000000005E10: 02464738
	v_add_f32_e32 v35, v57, v35                                // 000000005E14: 02464739
	v_add_f32_e32 v35, v58, v35                                // 000000005E18: 0246473A
	v_add_f32_e32 v35, v59, v35                                // 000000005E1C: 0246473B
	v_add_f32_e32 v4, v35, v4                                  // 000000005E20: 02080923
	v_cvt_pk_fp8_f32 v44, v44, v45                             // 000000005E24: D2A2002C 00025B2C
	v_cvt_pk_fp8_f32 v44, v46, v47 op_sel:[0,0,1]              // 000000005E2C: D2A2402C 00025F2E
	v_cvt_pk_fp8_f32 v45, v48, v49                             // 000000005E34: D2A2002D 00026330
	v_cvt_pk_fp8_f32 v45, v50, v51 op_sel:[0,0,1]              // 000000005E3C: D2A2402D 00026732
	v_cvt_pk_fp8_f32 v46, v52, v53                             // 000000005E44: D2A2002E 00026B34
	v_cvt_pk_fp8_f32 v46, v54, v55 op_sel:[0,0,1]              // 000000005E4C: D2A2402E 00026F36
	v_cvt_pk_fp8_f32 v47, v56, v57                             // 000000005E54: D2A2002F 00027338
	v_cvt_pk_fp8_f32 v47, v58, v59 op_sel:[0,0,1]              // 000000005E5C: D2A2402F 0002773A
	ds_write_b128 v43, v[44:47] offset:1024                    // 000000005E64: D9BE0400 00002C2B
	s_waitcnt lgkmcnt(0)                                       // 000000005E6C: BF8CC07F
	s_barrier                                                  // 000000005E70: BF8A0000
	ds_read_b128 v[44:47], v42 offset:1024                     // 000000005E74: D9FE0400 2C00002A
	ds_read_b128 v[48:51], v42 offset:2048                     // 000000005E7C: D9FE0800 3000002A
	s_waitcnt lgkmcnt(0)                                       // 000000005E84: BF8CC07F
	v_permlane32_swap_b32_e32 v44, v46                         // 000000005E88: 7E58B52E
	v_permlane32_swap_b32_e32 v45, v47                         // 000000005E8C: 7E5AB52F
	v_swap_b32 v45, v46                                        // 000000005E90: 7E5AA32E
	v_permlane32_swap_b32_e32 v48, v50                         // 000000005E94: 7E60B532
	v_permlane32_swap_b32_e32 v49, v51                         // 000000005E98: 7E62B533
	v_swap_b32 v49, v50                                        // 000000005E9C: 7E62A332
	ds_read_b64_tr_b8 a[72:73], v5                             // 000000005EA0: DBC40000 48000005
	ds_read_b64_tr_b8 a[74:75], v6                             // 000000005EA8: DBC40000 4A000006
	ds_read_b64_tr_b8 a[76:77], v5 offset:18432                // 000000005EB0: DBC44800 4C000005
	ds_read_b64_tr_b8 a[78:79], v6 offset:18432                // 000000005EB8: DBC44800 4E000006
	ds_read_b64_tr_b8 a[80:81], v7                             // 000000005EC0: DBC40000 50000007
	ds_read_b64_tr_b8 a[82:83], v8                             // 000000005EC8: DBC40000 52000008
	ds_read_b64_tr_b8 a[84:85], v7 offset:18432                // 000000005ED0: DBC44800 54000007
	ds_read_b64_tr_b8 a[86:87], v8 offset:18432                // 000000005ED8: DBC44800 56000008
	ds_read_b64_tr_b8 a[88:89], v5 offset:1024                 // 000000005EE0: DBC40400 58000005
	ds_read_b64_tr_b8 a[90:91], v6 offset:1024                 // 000000005EE8: DBC40400 5A000006
	ds_read_b64_tr_b8 a[92:93], v5 offset:19456                // 000000005EF0: DBC44C00 5C000005
	ds_read_b64_tr_b8 a[94:95], v6 offset:19456                // 000000005EF8: DBC44C00 5E000006
	ds_read_b64_tr_b8 a[96:97], v7 offset:1024                 // 000000005F00: DBC40400 60000007
	ds_read_b64_tr_b8 a[98:99], v8 offset:1024                 // 000000005F08: DBC40400 62000008
	ds_read_b64_tr_b8 a[100:101], v7 offset:19456              // 000000005F10: DBC44C00 64000007
	ds_read_b64_tr_b8 a[102:103], v8 offset:19456              // 000000005F18: DBC44C00 66000008
	ds_read_b64_tr_b8 a[104:105], v5 offset:2048               // 000000005F20: DBC40800 68000005
	ds_read_b64_tr_b8 a[106:107], v6 offset:2048               // 000000005F28: DBC40800 6A000006
	ds_read_b64_tr_b8 a[108:109], v5 offset:20480              // 000000005F30: DBC45000 6C000005
	ds_read_b64_tr_b8 a[110:111], v6 offset:20480              // 000000005F38: DBC45000 6E000006
	ds_read_b64_tr_b8 a[112:113], v7 offset:2048               // 000000005F40: DBC40800 70000007
	ds_read_b64_tr_b8 a[114:115], v8 offset:2048               // 000000005F48: DBC40800 72000008
	ds_read_b64_tr_b8 a[116:117], v7 offset:20480              // 000000005F50: DBC45000 74000007
	ds_read_b64_tr_b8 a[118:119], v8 offset:20480              // 000000005F58: DBC45000 76000008
	ds_read_b64_tr_b8 a[120:121], v5 offset:3072               // 000000005F60: DBC40C00 78000005
	ds_read_b64_tr_b8 a[122:123], v6 offset:3072               // 000000005F68: DBC40C00 7A000006
	ds_read_b64_tr_b8 a[124:125], v5 offset:21504              // 000000005F70: DBC45400 7C000005
	ds_read_b64_tr_b8 a[126:127], v6 offset:21504              // 000000005F78: DBC45400 7E000006
	ds_read_b64_tr_b8 a[128:129], v7 offset:3072               // 000000005F80: DBC40C00 80000007
	ds_read_b64_tr_b8 a[130:131], v8 offset:3072               // 000000005F88: DBC40C00 82000008
	ds_read_b64_tr_b8 a[132:133], v7 offset:21504              // 000000005F90: DBC45400 84000007
	ds_read_b64_tr_b8 a[134:135], v8 offset:21504              // 000000005F98: DBC45400 86000008
	s_waitcnt lgkmcnt(4)                                       // 000000005FA0: BF8CC47F
	v_mfma_f32_32x32x64_f8f6f4 v[76:91], a[72:79], v[60:67], v[76:91]// 000000005FA4: D3AE004C 0D327948
	ds_read_b64_tr_b8 a[72:73], v9                             // 000000005FAC: DBC40000 48000009
	ds_read_b64_tr_b8 a[74:75], v10                            // 000000005FB4: DBC40000 4A00000A
	ds_read_b64_tr_b8 a[76:77], v9 offset:18432                // 000000005FBC: DBC44800 4C000009
	ds_read_b64_tr_b8 a[78:79], v10 offset:18432               // 000000005FC4: DBC44800 4E00000A
	v_mfma_f32_32x32x64_f8f6f4 v[92:107], a[80:87], v[60:67], v[92:107]// 000000005FCC: D3AE005C 0D727950
	ds_read_b64_tr_b8 a[80:81], v11                            // 000000005FD4: DBC40000 5000000B
	ds_read_b64_tr_b8 a[82:83], v12                            // 000000005FDC: DBC40000 5200000C
	ds_read_b64_tr_b8 a[84:85], v11 offset:18432               // 000000005FE4: DBC44800 5400000B
	ds_read_b64_tr_b8 a[86:87], v12 offset:18432               // 000000005FEC: DBC44800 5600000C
	v_mfma_f32_32x32x64_f8f6f4 v[108:123], a[88:95], v[60:67], v[108:123]// 000000005FF4: D3AE006C 0DB27958
	ds_read_b64_tr_b8 a[88:89], v9 offset:1024                 // 000000005FFC: DBC40400 58000009
	ds_read_b64_tr_b8 a[90:91], v10 offset:1024                // 000000006004: DBC40400 5A00000A
	ds_read_b64_tr_b8 a[92:93], v9 offset:19456                // 00000000600C: DBC44C00 5C000009
	ds_read_b64_tr_b8 a[94:95], v10 offset:19456               // 000000006014: DBC44C00 5E00000A
	v_mfma_f32_32x32x64_f8f6f4 v[124:139], a[96:103], v[60:67], v[124:139]// 00000000601C: D3AE007C 0DF27960
	ds_read_b64_tr_b8 a[96:97], v11 offset:1024                // 000000006024: DBC40400 6000000B
	ds_read_b64_tr_b8 a[98:99], v12 offset:1024                // 00000000602C: DBC40400 6200000C
	ds_read_b64_tr_b8 a[100:101], v11 offset:19456             // 000000006034: DBC44C00 6400000B
	ds_read_b64_tr_b8 a[102:103], v12 offset:19456             // 00000000603C: DBC44C00 6600000C
	v_mfma_f32_32x32x64_f8f6f4 v[140:155], a[104:111], v[60:67], v[140:155]// 000000006044: D3AE008C 0E327968
	ds_read_b64_tr_b8 a[104:105], v9 offset:2048               // 00000000604C: DBC40800 68000009
	ds_read_b64_tr_b8 a[106:107], v10 offset:2048              // 000000006054: DBC40800 6A00000A
	ds_read_b64_tr_b8 a[108:109], v9 offset:20480              // 00000000605C: DBC45000 6C000009
	ds_read_b64_tr_b8 a[110:111], v10 offset:20480             // 000000006064: DBC45000 6E00000A
	v_mfma_f32_32x32x64_f8f6f4 v[156:171], a[112:119], v[60:67], v[156:171]// 00000000606C: D3AE009C 0E727970
	ds_read_b64_tr_b8 a[112:113], v11 offset:2048              // 000000006074: DBC40800 7000000B
	ds_read_b64_tr_b8 a[114:115], v12 offset:2048              // 00000000607C: DBC40800 7200000C
	ds_read_b64_tr_b8 a[116:117], v11 offset:20480             // 000000006084: DBC45000 7400000B
	ds_read_b64_tr_b8 a[118:119], v12 offset:20480             // 00000000608C: DBC45000 7600000C
	v_mfma_f32_32x32x64_f8f6f4 v[172:187], a[120:127], v[60:67], v[172:187]// 000000006094: D3AE00AC 0EB27978
	ds_read_b64_tr_b8 a[120:121], v9 offset:3072               // 00000000609C: DBC40C00 78000009
	ds_read_b64_tr_b8 a[122:123], v10 offset:3072              // 0000000060A4: DBC40C00 7A00000A
	ds_read_b64_tr_b8 a[124:125], v9 offset:21504              // 0000000060AC: DBC45400 7C000009
	ds_read_b64_tr_b8 a[126:127], v10 offset:21504             // 0000000060B4: DBC45400 7E00000A
	v_mfma_f32_32x32x64_f8f6f4 v[188:203], a[128:135], v[60:67], v[188:203]// 0000000060BC: D3AE00BC 0EF27980
	ds_read_b64_tr_b8 a[128:129], v11 offset:3072              // 0000000060C4: DBC40C00 8000000B
	ds_read_b64_tr_b8 a[130:131], v12 offset:3072              // 0000000060CC: DBC40C00 8200000C
	ds_read_b64_tr_b8 a[132:133], v11 offset:21504             // 0000000060D4: DBC45400 8400000B
	ds_read_b64_tr_b8 a[134:135], v12 offset:21504             // 0000000060DC: DBC45400 8600000C
	v_mov_b32_e32 v36, v21                                     // 0000000060E4: 7E480315
	v_mov_b32_e32 v37, v21                                     // 0000000060E8: 7E4A0315
	v_pk_mul_f32 v[76:77], v[36:37], v[76:77]                  // 0000000060EC: D3B1404C 18029924
	v_pk_mul_f32 v[78:79], v[36:37], v[78:79]                  // 0000000060F4: D3B1404E 18029D24
	v_pk_mul_f32 v[80:81], v[36:37], v[80:81]                  // 0000000060FC: D3B14050 1802A124
	v_pk_mul_f32 v[82:83], v[36:37], v[82:83]                  // 000000006104: D3B14052 1802A524
	v_pk_mul_f32 v[84:85], v[36:37], v[84:85]                  // 00000000610C: D3B14054 1802A924
	v_pk_mul_f32 v[86:87], v[36:37], v[86:87]                  // 000000006114: D3B14056 1802AD24
	v_pk_mul_f32 v[88:89], v[36:37], v[88:89]                  // 00000000611C: D3B14058 1802B124
	v_pk_mul_f32 v[90:91], v[36:37], v[90:91]                  // 000000006124: D3B1405A 1802B524
	v_pk_mul_f32 v[92:93], v[36:37], v[92:93]                  // 00000000612C: D3B1405C 1802B924
	v_pk_mul_f32 v[94:95], v[36:37], v[94:95]                  // 000000006134: D3B1405E 1802BD24
	v_pk_mul_f32 v[96:97], v[36:37], v[96:97]                  // 00000000613C: D3B14060 1802C124
	v_pk_mul_f32 v[98:99], v[36:37], v[98:99]                  // 000000006144: D3B14062 1802C524
	v_pk_mul_f32 v[100:101], v[36:37], v[100:101]              // 00000000614C: D3B14064 1802C924
	v_pk_mul_f32 v[102:103], v[36:37], v[102:103]              // 000000006154: D3B14066 1802CD24
	v_pk_mul_f32 v[104:105], v[36:37], v[104:105]              // 00000000615C: D3B14068 1802D124
	v_pk_mul_f32 v[106:107], v[36:37], v[106:107]              // 000000006164: D3B1406A 1802D524
	v_pk_mul_f32 v[108:109], v[36:37], v[108:109]              // 00000000616C: D3B1406C 1802D924
	v_pk_mul_f32 v[110:111], v[36:37], v[110:111]              // 000000006174: D3B1406E 1802DD24
	v_pk_mul_f32 v[112:113], v[36:37], v[112:113]              // 00000000617C: D3B14070 1802E124
	v_pk_mul_f32 v[114:115], v[36:37], v[114:115]              // 000000006184: D3B14072 1802E524
	v_pk_mul_f32 v[116:117], v[36:37], v[116:117]              // 00000000618C: D3B14074 1802E924
	v_pk_mul_f32 v[118:119], v[36:37], v[118:119]              // 000000006194: D3B14076 1802ED24
	v_pk_mul_f32 v[120:121], v[36:37], v[120:121]              // 00000000619C: D3B14078 1802F124
	v_pk_mul_f32 v[122:123], v[36:37], v[122:123]              // 0000000061A4: D3B1407A 1802F524
	v_pk_mul_f32 v[124:125], v[36:37], v[124:125]              // 0000000061AC: D3B1407C 1802F924
	v_pk_mul_f32 v[126:127], v[36:37], v[126:127]              // 0000000061B4: D3B1407E 1802FD24
	v_pk_mul_f32 v[128:129], v[36:37], v[128:129]              // 0000000061BC: D3B14080 18030124
	v_pk_mul_f32 v[130:131], v[36:37], v[130:131]              // 0000000061C4: D3B14082 18030524
	v_pk_mul_f32 v[132:133], v[36:37], v[132:133]              // 0000000061CC: D3B14084 18030924
	v_pk_mul_f32 v[134:135], v[36:37], v[134:135]              // 0000000061D4: D3B14086 18030D24
	v_pk_mul_f32 v[136:137], v[36:37], v[136:137]              // 0000000061DC: D3B14088 18031124
	v_pk_mul_f32 v[138:139], v[36:37], v[138:139]              // 0000000061E4: D3B1408A 18031524
	v_pk_mul_f32 v[140:141], v[36:37], v[140:141]              // 0000000061EC: D3B1408C 18031924
	v_pk_mul_f32 v[142:143], v[36:37], v[142:143]              // 0000000061F4: D3B1408E 18031D24
	v_pk_mul_f32 v[144:145], v[36:37], v[144:145]              // 0000000061FC: D3B14090 18032124
	v_pk_mul_f32 v[146:147], v[36:37], v[146:147]              // 000000006204: D3B14092 18032524
	v_pk_mul_f32 v[148:149], v[36:37], v[148:149]              // 00000000620C: D3B14094 18032924
	v_pk_mul_f32 v[150:151], v[36:37], v[150:151]              // 000000006214: D3B14096 18032D24
	v_pk_mul_f32 v[152:153], v[36:37], v[152:153]              // 00000000621C: D3B14098 18033124
	v_pk_mul_f32 v[154:155], v[36:37], v[154:155]              // 000000006224: D3B1409A 18033524
	v_pk_mul_f32 v[156:157], v[36:37], v[156:157]              // 00000000622C: D3B1409C 18033924
	v_pk_mul_f32 v[158:159], v[36:37], v[158:159]              // 000000006234: D3B1409E 18033D24
	v_pk_mul_f32 v[160:161], v[36:37], v[160:161]              // 00000000623C: D3B140A0 18034124
	v_pk_mul_f32 v[162:163], v[36:37], v[162:163]              // 000000006244: D3B140A2 18034524
	v_pk_mul_f32 v[164:165], v[36:37], v[164:165]              // 00000000624C: D3B140A4 18034924
	v_pk_mul_f32 v[166:167], v[36:37], v[166:167]              // 000000006254: D3B140A6 18034D24
	v_pk_mul_f32 v[168:169], v[36:37], v[168:169]              // 00000000625C: D3B140A8 18035124
	v_pk_mul_f32 v[170:171], v[36:37], v[170:171]              // 000000006264: D3B140AA 18035524
	v_pk_mul_f32 v[172:173], v[36:37], v[172:173]              // 00000000626C: D3B140AC 18035924
	v_pk_mul_f32 v[174:175], v[36:37], v[174:175]              // 000000006274: D3B140AE 18035D24
	v_pk_mul_f32 v[176:177], v[36:37], v[176:177]              // 00000000627C: D3B140B0 18036124
	v_pk_mul_f32 v[178:179], v[36:37], v[178:179]              // 000000006284: D3B140B2 18036524
	v_pk_mul_f32 v[180:181], v[36:37], v[180:181]              // 00000000628C: D3B140B4 18036924
	v_pk_mul_f32 v[182:183], v[36:37], v[182:183]              // 000000006294: D3B140B6 18036D24
	v_pk_mul_f32 v[184:185], v[36:37], v[184:185]              // 00000000629C: D3B140B8 18037124
	v_pk_mul_f32 v[186:187], v[36:37], v[186:187]              // 0000000062A4: D3B140BA 18037524
	v_pk_mul_f32 v[188:189], v[36:37], v[188:189]              // 0000000062AC: D3B140BC 18037924
	v_pk_mul_f32 v[190:191], v[36:37], v[190:191]              // 0000000062B4: D3B140BE 18037D24
	v_pk_mul_f32 v[192:193], v[36:37], v[192:193]              // 0000000062BC: D3B140C0 18038124
	v_pk_mul_f32 v[194:195], v[36:37], v[194:195]              // 0000000062C4: D3B140C2 18038524
	v_pk_mul_f32 v[196:197], v[36:37], v[196:197]              // 0000000062CC: D3B140C4 18038924
	v_pk_mul_f32 v[198:199], v[36:37], v[198:199]              // 0000000062D4: D3B140C6 18038D24
	v_pk_mul_f32 v[200:201], v[36:37], v[200:201]              // 0000000062DC: D3B140C8 18039124
	v_pk_mul_f32 v[202:203], v[36:37], v[202:203]              // 0000000062E4: D3B140CA 18039524
	s_waitcnt vmcnt(0)                                         // 0000000062EC: BF8C0F70
	s_barrier                                                  // 0000000062F0: BF8A0000
	v_mfma_f32_32x32x64_f8f6f4 v[76:91], a[72:79], v[44:51], v[76:91]// 0000000062F4: D3AE004C 0D325948
	ds_read_b128 a[72:75], v26                                 // 0000000062FC: DBFE0000 4800001A
	ds_read_b128 a[76:79], v27                                 // 000000006304: DBFE0000 4C00001B
	v_mfma_f32_32x32x64_f8f6f4 v[92:107], a[80:87], v[44:51], v[92:107]// 00000000630C: D3AE005C 0D725950
	ds_read_b128 a[80:83], v26 offset:1024                     // 000000006314: DBFE0400 5000001A
	ds_read_b128 a[84:87], v27 offset:1024                     // 00000000631C: DBFE0400 5400001B
	v_mfma_f32_32x32x64_f8f6f4 v[108:123], a[88:95], v[44:51], v[108:123]// 000000006324: D3AE006C 0DB25958
	ds_read_b128 a[88:91], v26 offset:2048                     // 00000000632C: DBFE0800 5800001A
	ds_read_b128 a[92:95], v27 offset:2048                     // 000000006334: DBFE0800 5C00001B
	v_mfma_f32_32x32x64_f8f6f4 v[124:139], a[96:103], v[44:51], v[124:139]// 00000000633C: D3AE007C 0DF25960
	ds_read_b128 a[96:99], v26 offset:3072                     // 000000006344: DBFE0C00 6000001A
	ds_read_b128 a[100:103], v27 offset:3072                   // 00000000634C: DBFE0C00 6400001B
	v_mfma_f32_32x32x64_f8f6f4 v[140:155], a[104:111], v[44:51], v[140:155]// 000000006354: D3AE008C 0E325968
	ds_read_b128 a[104:107], v26 offset:4096                   // 00000000635C: DBFE1000 6800001A
	ds_read_b128 a[108:111], v27 offset:4096                   // 000000006364: DBFE1000 6C00001B
	v_mfma_f32_32x32x64_f8f6f4 v[156:171], a[112:119], v[44:51], v[156:171]// 00000000636C: D3AE009C 0E725970
	ds_read_b128 a[112:115], v26 offset:5120                   // 000000006374: DBFE1400 7000001A
	ds_read_b128 a[116:119], v27 offset:5120                   // 00000000637C: DBFE1400 7400001B
	v_mfma_f32_32x32x64_f8f6f4 v[172:187], a[120:127], v[44:51], v[172:187]// 000000006384: D3AE00AC 0EB25978
	ds_read_b128 a[120:123], v26 offset:6144                   // 00000000638C: DBFE1800 7800001A
	ds_read_b128 a[124:127], v27 offset:6144                   // 000000006394: DBFE1800 7C00001B
	v_mfma_f32_32x32x64_f8f6f4 v[188:203], a[128:135], v[44:51], v[188:203]// 00000000639C: D3AE00BC 0EF25980
	ds_read_b128 a[128:131], v26 offset:7168                   // 0000000063A4: DBFE1C00 8000001A
	ds_read_b128 a[132:135], v27 offset:7168                   // 0000000063AC: DBFE1C00 8400001B
	ds_read_b128 a[136:139], v26 offset:8192                   // 0000000063B4: DBFE2000 8800001A
	ds_read_b128 a[140:143], v27 offset:8192                   // 0000000063BC: DBFE2000 8C00001B
	s_branch label_5CB8                                        // 0000000063C4: BF8206FC

00000000000063c8 <label_40C8>:
	s_mov_b32 s56, 64                                          // 0000000063C8: BEB800C0
	s_mul_i32 s83, s56, s71                                    // 0000000063CC: 92534738
	s_cmp_le_i32 s83, s82                                      // 0000000063D0: BF055253
	s_cbranch_scc1 label_42A4                                  // 0000000063D4: BF850073
	v_and_b32_e32 v35, 31, v0                                  // 0000000063D8: 2646009F
	v_lshrrev_b32_e32 v35, 3, v35                              // 0000000063DC: 20464683
	v_add_u32_e32 v35, s82, v35                                // 0000000063E0: 68464652
	s_and_b32 s56, 2, s7                                       // 0000000063E4: 86380782
	s_lshl_b32 s56, s56, 1                                     // 0000000063E8: 8E388138
	v_add_u32_e32 v35, s56, v35                                // 0000000063EC: 68464638
	s_sub_u32 s56, s83, 64                                     // 0000000063F0: 80B8C053
	v_lshrrev_b32_e32 v204, 5, v0                              // 0000000063F4: 21980085
	v_mul_i32_i24_e32 v204, 4, v204                            // 0000000063F8: 0D999884
	v_add_u32_e32 v204, s56, v204                              // 0000000063FC: 69999838
	s_and_b32 s56, s7, 1                                       // 000000006400: 86388107
	s_mov_b32 s57, 32                                          // 000000006404: BEB900A0
	s_mul_i32 s56, s57, s56                                    // 000000006408: 92383839
	v_add_u32_e32 v204, s56, v204                              // 00000000640C: 69999838
	v_add_u32_e32 v205, 1, v204                                // 000000006410: 699B9881
	v_add_u32_e32 v206, 2, v204                                // 000000006414: 699D9882
	v_add_u32_e32 v207, 3, v204                                // 000000006418: 699F9883
	v_mov_b32_e32 v37, 0xff800000                              // 00000000641C: 7E4A02FF FF800000
	v_cmp_le_i32_e64 s[36:37], v204, v35                       // 000000006424: D0C30024 000247CC
	s_nop 0                                                    // 00000000642C: BF800000
	v_cndmask_b32_e64 v60, v37, v60, s[36:37]                  // 000000006430: D100003C 00927925
	v_add_u32_e32 v204, 8, v204                                // 000000006438: 69999888
	v_cmp_le_i32_e64 s[36:37], v205, v35                       // 00000000643C: D0C30024 000247CD
	s_nop 0                                                    // 000000006444: BF800000
	v_cndmask_b32_e64 v61, v37, v61, s[36:37]                  // 000000006448: D100003D 00927B25
	v_add_u32_e32 v205, 8, v205                                // 000000006450: 699B9A88
	v_cmp_le_i32_e64 s[36:37], v206, v35                       // 000000006454: D0C30024 000247CE
	s_nop 0                                                    // 00000000645C: BF800000
	v_cndmask_b32_e64 v62, v37, v62, s[36:37]                  // 000000006460: D100003E 00927D25
	v_add_u32_e32 v206, 8, v206                                // 000000006468: 699D9C88
	v_cmp_le_i32_e64 s[36:37], v207, v35                       // 00000000646C: D0C30024 000247CF
	s_nop 0                                                    // 000000006474: BF800000
	v_cndmask_b32_e64 v63, v37, v63, s[36:37]                  // 000000006478: D100003F 00927F25
	v_add_u32_e32 v207, 8, v207                                // 000000006480: 699F9E88
	v_cmp_le_i32_e64 s[36:37], v204, v35                       // 000000006484: D0C30024 000247CC
	s_nop 0                                                    // 00000000648C: BF800000
	v_cndmask_b32_e64 v64, v37, v64, s[36:37]                  // 000000006490: D1000040 00928125
	v_add_u32_e32 v204, 8, v204                                // 000000006498: 69999888
	v_cmp_le_i32_e64 s[36:37], v205, v35                       // 00000000649C: D0C30024 000247CD
	s_nop 0                                                    // 0000000064A4: BF800000
	v_cndmask_b32_e64 v65, v37, v65, s[36:37]                  // 0000000064A8: D1000041 00928325
	v_add_u32_e32 v205, 8, v205                                // 0000000064B0: 699B9A88
	v_cmp_le_i32_e64 s[36:37], v206, v35                       // 0000000064B4: D0C30024 000247CE
	s_nop 0                                                    // 0000000064BC: BF800000
	v_cndmask_b32_e64 v66, v37, v66, s[36:37]                  // 0000000064C0: D1000042 00928525
	v_add_u32_e32 v206, 8, v206                                // 0000000064C8: 699D9C88
	v_cmp_le_i32_e64 s[36:37], v207, v35                       // 0000000064CC: D0C30024 000247CF
	s_nop 0                                                    // 0000000064D4: BF800000
	v_cndmask_b32_e64 v67, v37, v67, s[36:37]                  // 0000000064D8: D1000043 00928725
	v_add_u32_e32 v207, 8, v207                                // 0000000064E0: 699F9E88
	v_cmp_le_i32_e64 s[36:37], v204, v35                       // 0000000064E4: D0C30024 000247CC
	s_nop 0                                                    // 0000000064EC: BF800000
	v_cndmask_b32_e64 v68, v37, v68, s[36:37]                  // 0000000064F0: D1000044 00928925
	v_add_u32_e32 v204, 8, v204                                // 0000000064F8: 69999888
	v_cmp_le_i32_e64 s[36:37], v205, v35                       // 0000000064FC: D0C30024 000247CD
	s_nop 0                                                    // 000000006504: BF800000
	v_cndmask_b32_e64 v69, v37, v69, s[36:37]                  // 000000006508: D1000045 00928B25
	v_add_u32_e32 v205, 8, v205                                // 000000006510: 699B9A88
	v_cmp_le_i32_e64 s[36:37], v206, v35                       // 000000006514: D0C30024 000247CE
	s_nop 0                                                    // 00000000651C: BF800000
	v_cndmask_b32_e64 v70, v37, v70, s[36:37]                  // 000000006520: D1000046 00928D25
	v_add_u32_e32 v206, 8, v206                                // 000000006528: 699D9C88
	v_cmp_le_i32_e64 s[36:37], v207, v35                       // 00000000652C: D0C30024 000247CF
	s_nop 0                                                    // 000000006534: BF800000
	v_cndmask_b32_e64 v71, v37, v71, s[36:37]                  // 000000006538: D1000047 00928F25
	v_add_u32_e32 v207, 8, v207                                // 000000006540: 699F9E88
	v_cmp_le_i32_e64 s[36:37], v204, v35                       // 000000006544: D0C30024 000247CC
	s_nop 0                                                    // 00000000654C: BF800000
	v_cndmask_b32_e64 v72, v37, v72, s[36:37]                  // 000000006550: D1000048 00929125
	v_add_u32_e32 v204, 8, v204                                // 000000006558: 69999888
	v_cmp_le_i32_e64 s[36:37], v205, v35                       // 00000000655C: D0C30024 000247CD
	s_nop 0                                                    // 000000006564: BF800000
	v_cndmask_b32_e64 v73, v37, v73, s[36:37]                  // 000000006568: D1000049 00929325
	v_add_u32_e32 v205, 8, v205                                // 000000006570: 699B9A88
	v_cmp_le_i32_e64 s[36:37], v206, v35                       // 000000006574: D0C30024 000247CE
	s_nop 0                                                    // 00000000657C: BF800000
	v_cndmask_b32_e64 v74, v37, v74, s[36:37]                  // 000000006580: D100004A 00929525
	v_add_u32_e32 v206, 8, v206                                // 000000006588: 699D9C88
	v_cmp_le_i32_e64 s[36:37], v207, v35                       // 00000000658C: D0C30024 000247CF
	s_nop 0                                                    // 000000006594: BF800000
	v_cndmask_b32_e64 v75, v37, v75, s[36:37]                  // 000000006598: D100004B 00929725
	v_add_u32_e32 v207, 8, v207                                // 0000000065A0: 699F9E88

00000000000065a4 <label_42A4>:
	s_add_u32 s83, s84, s83                                    // 0000000065A4: 80535354
	s_nop 2                                                    // 0000000065A8: BF800002
	v_mov_b32_e32 v213, v60                                    // 0000000065AC: 7FAA033C
	v_max3_f32 v213, v60, v61, v213                            // 0000000065B0: D1D300D5 07567B3C
	v_max3_f32 v213, v62, v63, v213                            // 0000000065B8: D1D300D5 07567F3E
	v_max3_f32 v213, v64, v65, v213                            // 0000000065C0: D1D300D5 07568340
	v_max3_f32 v213, v66, v67, v213                            // 0000000065C8: D1D300D5 07568742
	v_max3_f32 v213, v68, v69, v213                            // 0000000065D0: D1D300D5 07568B44
	v_max3_f32 v213, v70, v71, v213                            // 0000000065D8: D1D300D5 07568F46
	v_max3_f32 v213, v72, v73, v213                            // 0000000065E0: D1D300D5 07569348
	v_max3_f32 v213, v74, v75, v213                            // 0000000065E8: D1D300D5 0756974A
	v_mov_b32_e32 v35, v213                                    // 0000000065F0: 7E4603D5
	v_mov_b32_e32 v36, v213                                    // 0000000065F4: 7E4803D5
	s_nop 1                                                    // 0000000065F8: BF800001
	v_permlane32_swap_b32_e32 v35, v36                         // 0000000065FC: 7E46B524
	v_max3_f32 v213, v35, v36, v213                            // 000000006600: D1D300D5 07564923
	ds_write_b32 v41, v213                                     // 000000006608: D81A0000 0000D529
	s_waitcnt lgkmcnt(0)                                       // 000000006610: BF8CC07F
	s_barrier                                                  // 000000006614: BF8A0000
	ds_read_b32 v35, v40                                       // 000000006618: D86C0000 23000028
	ds_read_b32 v36, v40 offset:256                            // 000000006620: D86C0100 24000028
	s_waitcnt lgkmcnt(0)                                       // 000000006628: BF8CC07F
	v_max3_f32 v213, v35, v36, v213                            // 00000000662C: D1D300D5 07564923
	v_mov_b32_e32 v35, 0xff800000                              // 000000006634: 7E4602FF FF800000
	v_cmp_eq_u32_e64 s[36:37], v35, v2                         // 00000000663C: D0CA0024 00020523
	v_max_f32_e32 v216, v213, v2                               // 000000006644: 17B005D5
	v_sub_f32_e32 v21, v2, v216                                // 000000006648: 042BB102
	v_cndmask_b32_e64 v21, v21, 0, s[36:37]                    // 00000000664C: D1000015 00910115
	v_mov_b32_e32 v2, v216                                     // 000000006654: 7E0403D8
	v_mul_f32_e32 v212, s5, v216                               // 000000006658: 0BA9B005
	v_mul_f32_e32 v21, s5, v21                                 // 00000000665C: 0A2A2A05
	v_exp_f32_e32 v21, v21                                     // 000000006660: 7E2A4115
	v_fma_f32 v60, v60, s5, -v212                              // 000000006664: D1CB003C 87500B3C
	v_fma_f32 v61, v61, s5, -v212                              // 00000000666C: D1CB003D 87500B3D
	v_fma_f32 v62, v62, s5, -v212                              // 000000006674: D1CB003E 87500B3E
	v_fma_f32 v63, v63, s5, -v212                              // 00000000667C: D1CB003F 87500B3F
	v_fma_f32 v64, v64, s5, -v212                              // 000000006684: D1CB0040 87500B40
	v_fma_f32 v65, v65, s5, -v212                              // 00000000668C: D1CB0041 87500B41
	v_fma_f32 v66, v66, s5, -v212                              // 000000006694: D1CB0042 87500B42
	v_fma_f32 v67, v67, s5, -v212                              // 00000000669C: D1CB0043 87500B43
	v_fma_f32 v68, v68, s5, -v212                              // 0000000066A4: D1CB0044 87500B44
	v_fma_f32 v69, v69, s5, -v212                              // 0000000066AC: D1CB0045 87500B45
	v_fma_f32 v70, v70, s5, -v212                              // 0000000066B4: D1CB0046 87500B46
	v_fma_f32 v71, v71, s5, -v212                              // 0000000066BC: D1CB0047 87500B47
	v_fma_f32 v72, v72, s5, -v212                              // 0000000066C4: D1CB0048 87500B48
	v_fma_f32 v73, v73, s5, -v212                              // 0000000066CC: D1CB0049 87500B49
	v_fma_f32 v74, v74, s5, -v212                              // 0000000066D4: D1CB004A 87500B4A
	v_fma_f32 v75, v75, s5, -v212                              // 0000000066DC: D1CB004B 87500B4B
	v_mov_b32_e32 v35, 0xffc00000                              // 0000000066E4: 7E4602FF FFC00000
	v_exp_f32_e32 v60, v60                                     // 0000000066EC: 7E78413C
	v_exp_f32_e32 v61, v61                                     // 0000000066F0: 7E7A413D
	v_exp_f32_e32 v62, v62                                     // 0000000066F4: 7E7C413E
	v_exp_f32_e32 v63, v63                                     // 0000000066F8: 7E7E413F
	v_exp_f32_e32 v64, v64                                     // 0000000066FC: 7E804140
	v_exp_f32_e32 v65, v65                                     // 000000006700: 7E824141
	v_exp_f32_e32 v66, v66                                     // 000000006704: 7E844142
	v_exp_f32_e32 v67, v67                                     // 000000006708: 7E864143
	v_exp_f32_e32 v68, v68                                     // 00000000670C: 7E884144
	v_exp_f32_e32 v69, v69                                     // 000000006710: 7E8A4145
	v_exp_f32_e32 v70, v70                                     // 000000006714: 7E8C4146
	v_exp_f32_e32 v71, v71                                     // 000000006718: 7E8E4147
	v_exp_f32_e32 v72, v72                                     // 00000000671C: 7E904148
	v_exp_f32_e32 v73, v73                                     // 000000006720: 7E924149
	v_exp_f32_e32 v74, v74                                     // 000000006724: 7E94414A
	v_exp_f32_e32 v75, v75                                     // 000000006728: 7E96414B
	v_mul_f32_e32 v4, v21, v4                                  // 00000000672C: 0A080915
	v_mov_b32_e32 v35, v60                                     // 000000006730: 7E46033C
	v_add_f32_e32 v35, v61, v35                                // 000000006734: 0246473D
	v_add_f32_e32 v35, v62, v35                                // 000000006738: 0246473E
	v_add_f32_e32 v35, v63, v35                                // 00000000673C: 0246473F
	v_add_f32_e32 v35, v64, v35                                // 000000006740: 02464740
	v_add_f32_e32 v35, v65, v35                                // 000000006744: 02464741
	;; [unrolled: 1-line block ×3, first 2 shown]
	v_add_f32_e32 v35, v67, v35                                // 00000000674C: 02464743
	v_add_f32_e32 v35, v68, v35                                // 000000006750: 02464744
	v_add_f32_e32 v35, v69, v35                                // 000000006754: 02464745
	;; [unrolled: 1-line block ×3, first 2 shown]
	v_add_f32_e32 v35, v71, v35                                // 00000000675C: 02464747
	v_add_f32_e32 v35, v72, v35                                // 000000006760: 02464748
	v_add_f32_e32 v35, v73, v35                                // 000000006764: 02464749
	v_add_f32_e32 v35, v74, v35                                // 000000006768: 0246474A
	v_add_f32_e32 v35, v75, v35                                // 00000000676C: 0246474B
	v_add_f32_e32 v4, v35, v4                                  // 000000006770: 02080923
	v_cvt_pk_fp8_f32 v60, v60, v61                             // 000000006774: D2A2003C 00027B3C
	v_cvt_pk_fp8_f32 v60, v62, v63 op_sel:[0,0,1]              // 00000000677C: D2A2403C 00027F3E
	v_cvt_pk_fp8_f32 v61, v64, v65                             // 000000006784: D2A2003D 00028340
	v_cvt_pk_fp8_f32 v61, v66, v67 op_sel:[0,0,1]              // 00000000678C: D2A2403D 00028742
	v_cvt_pk_fp8_f32 v62, v68, v69                             // 000000006794: D2A2003E 00028B44
	v_cvt_pk_fp8_f32 v62, v70, v71 op_sel:[0,0,1]              // 00000000679C: D2A2403E 00028F46
	v_cvt_pk_fp8_f32 v63, v72, v73                             // 0000000067A4: D2A2003F 00029348
	v_cvt_pk_fp8_f32 v63, v74, v75 op_sel:[0,0,1]              // 0000000067AC: D2A2403F 0002974A
	ds_write_b128 v43, v[60:63] offset:1024                    // 0000000067B4: D9BE0400 00003C2B
	s_waitcnt lgkmcnt(0)                                       // 0000000067BC: BF8CC07F
	s_barrier                                                  // 0000000067C0: BF8A0000
	ds_read_b128 v[60:63], v42 offset:1024                     // 0000000067C4: D9FE0400 3C00002A
	ds_read_b128 v[64:67], v42 offset:2048                     // 0000000067CC: D9FE0800 4000002A
	s_waitcnt lgkmcnt(0)                                       // 0000000067D4: BF8CC07F
	v_permlane32_swap_b32_e32 v60, v62                         // 0000000067D8: 7E78B53E
	v_permlane32_swap_b32_e32 v61, v63                         // 0000000067DC: 7E7AB53F
	v_swap_b32 v61, v62                                        // 0000000067E0: 7E7AA33E
	v_permlane32_swap_b32_e32 v64, v66                         // 0000000067E4: 7E80B542
	v_permlane32_swap_b32_e32 v65, v67                         // 0000000067E8: 7E82B543
	v_swap_b32 v65, v66                                        // 0000000067EC: 7E82A342
	ds_read_b64_tr_b8 a[72:73], v9                             // 0000000067F0: DBC40000 48000009
	ds_read_b64_tr_b8 a[74:75], v10                            // 0000000067F8: DBC40000 4A00000A
	ds_read_b64_tr_b8 a[76:77], v9 offset:18432                // 000000006800: DBC44800 4C000009
	ds_read_b64_tr_b8 a[78:79], v10 offset:18432               // 000000006808: DBC44800 4E00000A
	ds_read_b64_tr_b8 a[80:81], v11                            // 000000006810: DBC40000 5000000B
	ds_read_b64_tr_b8 a[82:83], v12                            // 000000006818: DBC40000 5200000C
	ds_read_b64_tr_b8 a[84:85], v11 offset:18432               // 000000006820: DBC44800 5400000B
	ds_read_b64_tr_b8 a[86:87], v12 offset:18432               // 000000006828: DBC44800 5600000C
	ds_read_b64_tr_b8 a[88:89], v9 offset:1024                 // 000000006830: DBC40400 58000009
	ds_read_b64_tr_b8 a[90:91], v10 offset:1024                // 000000006838: DBC40400 5A00000A
	ds_read_b64_tr_b8 a[92:93], v9 offset:19456                // 000000006840: DBC44C00 5C000009
	ds_read_b64_tr_b8 a[94:95], v10 offset:19456               // 000000006848: DBC44C00 5E00000A
	ds_read_b64_tr_b8 a[96:97], v11 offset:1024                // 000000006850: DBC40400 6000000B
	ds_read_b64_tr_b8 a[98:99], v12 offset:1024                // 000000006858: DBC40400 6200000C
	ds_read_b64_tr_b8 a[100:101], v11 offset:19456             // 000000006860: DBC44C00 6400000B
	ds_read_b64_tr_b8 a[102:103], v12 offset:19456             // 000000006868: DBC44C00 6600000C
	ds_read_b64_tr_b8 a[104:105], v9 offset:2048               // 000000006870: DBC40800 68000009
	ds_read_b64_tr_b8 a[106:107], v10 offset:2048              // 000000006878: DBC40800 6A00000A
	ds_read_b64_tr_b8 a[108:109], v9 offset:20480              // 000000006880: DBC45000 6C000009
	ds_read_b64_tr_b8 a[110:111], v10 offset:20480             // 000000006888: DBC45000 6E00000A
	ds_read_b64_tr_b8 a[112:113], v11 offset:2048              // 000000006890: DBC40800 7000000B
	ds_read_b64_tr_b8 a[114:115], v12 offset:2048              // 000000006898: DBC40800 7200000C
	ds_read_b64_tr_b8 a[116:117], v11 offset:20480             // 0000000068A0: DBC45000 7400000B
	ds_read_b64_tr_b8 a[118:119], v12 offset:20480             // 0000000068A8: DBC45000 7600000C
	ds_read_b64_tr_b8 a[120:121], v9 offset:3072               // 0000000068B0: DBC40C00 78000009
	ds_read_b64_tr_b8 a[122:123], v10 offset:3072              // 0000000068B8: DBC40C00 7A00000A
	ds_read_b64_tr_b8 a[124:125], v9 offset:21504              // 0000000068C0: DBC45400 7C000009
	ds_read_b64_tr_b8 a[126:127], v10 offset:21504             // 0000000068C8: DBC45400 7E00000A
	ds_read_b64_tr_b8 a[128:129], v11 offset:3072              // 0000000068D0: DBC40C00 8000000B
	ds_read_b64_tr_b8 a[130:131], v12 offset:3072              // 0000000068D8: DBC40C00 8200000C
	ds_read_b64_tr_b8 a[132:133], v11 offset:21504             // 0000000068E0: DBC45400 8400000B
	ds_read_b64_tr_b8 a[134:135], v12 offset:21504             // 0000000068E8: DBC45400 8600000C
	s_waitcnt lgkmcnt(4)                                       // 0000000068F0: BF8CC47F
	v_mfma_f32_32x32x64_f8f6f4 v[76:91], a[72:79], v[44:51], v[76:91]// 0000000068F4: D3AE004C 0D325948
	ds_read_b64_tr_b8 a[72:73], v13                            // 0000000068FC: DBC40000 4800000D
	ds_read_b64_tr_b8 a[74:75], v14                            // 000000006904: DBC40000 4A00000E
	ds_read_b64_tr_b8 a[76:77], v13 offset:18432               // 00000000690C: DBC44800 4C00000D
	ds_read_b64_tr_b8 a[78:79], v14 offset:18432               // 000000006914: DBC44800 4E00000E
	v_mfma_f32_32x32x64_f8f6f4 v[92:107], a[80:87], v[44:51], v[92:107]// 00000000691C: D3AE005C 0D725950
	ds_read_b64_tr_b8 a[80:81], v15                            // 000000006924: DBC40000 5000000F
	ds_read_b64_tr_b8 a[82:83], v16                            // 00000000692C: DBC40000 52000010
	ds_read_b64_tr_b8 a[84:85], v15 offset:18432               // 000000006934: DBC44800 5400000F
	ds_read_b64_tr_b8 a[86:87], v16 offset:18432               // 00000000693C: DBC44800 56000010
	v_mfma_f32_32x32x64_f8f6f4 v[108:123], a[88:95], v[44:51], v[108:123]// 000000006944: D3AE006C 0DB25958
	ds_read_b64_tr_b8 a[88:89], v13 offset:1024                // 00000000694C: DBC40400 5800000D
	ds_read_b64_tr_b8 a[90:91], v14 offset:1024                // 000000006954: DBC40400 5A00000E
	ds_read_b64_tr_b8 a[92:93], v13 offset:19456               // 00000000695C: DBC44C00 5C00000D
	ds_read_b64_tr_b8 a[94:95], v14 offset:19456               // 000000006964: DBC44C00 5E00000E
	v_mfma_f32_32x32x64_f8f6f4 v[124:139], a[96:103], v[44:51], v[124:139]// 00000000696C: D3AE007C 0DF25960
	ds_read_b64_tr_b8 a[96:97], v15 offset:1024                // 000000006974: DBC40400 6000000F
	ds_read_b64_tr_b8 a[98:99], v16 offset:1024                // 00000000697C: DBC40400 62000010
	ds_read_b64_tr_b8 a[100:101], v15 offset:19456             // 000000006984: DBC44C00 6400000F
	ds_read_b64_tr_b8 a[102:103], v16 offset:19456             // 00000000698C: DBC44C00 66000010
	v_mfma_f32_32x32x64_f8f6f4 v[140:155], a[104:111], v[44:51], v[140:155]// 000000006994: D3AE008C 0E325968
	ds_read_b64_tr_b8 a[104:105], v13 offset:2048              // 00000000699C: DBC40800 6800000D
	ds_read_b64_tr_b8 a[106:107], v14 offset:2048              // 0000000069A4: DBC40800 6A00000E
	ds_read_b64_tr_b8 a[108:109], v13 offset:20480             // 0000000069AC: DBC45000 6C00000D
	ds_read_b64_tr_b8 a[110:111], v14 offset:20480             // 0000000069B4: DBC45000 6E00000E
	v_mfma_f32_32x32x64_f8f6f4 v[156:171], a[112:119], v[44:51], v[156:171]// 0000000069BC: D3AE009C 0E725970
	ds_read_b64_tr_b8 a[112:113], v15 offset:2048              // 0000000069C4: DBC40800 7000000F
	ds_read_b64_tr_b8 a[114:115], v16 offset:2048              // 0000000069CC: DBC40800 72000010
	ds_read_b64_tr_b8 a[116:117], v15 offset:20480             // 0000000069D4: DBC45000 7400000F
	ds_read_b64_tr_b8 a[118:119], v16 offset:20480             // 0000000069DC: DBC45000 76000010
	v_mfma_f32_32x32x64_f8f6f4 v[172:187], a[120:127], v[44:51], v[172:187]// 0000000069E4: D3AE00AC 0EB25978
	ds_read_b64_tr_b8 a[120:121], v13 offset:3072              // 0000000069EC: DBC40C00 7800000D
	ds_read_b64_tr_b8 a[122:123], v14 offset:3072              // 0000000069F4: DBC40C00 7A00000E
	ds_read_b64_tr_b8 a[124:125], v13 offset:21504             // 0000000069FC: DBC45400 7C00000D
	ds_read_b64_tr_b8 a[126:127], v14 offset:21504             // 000000006A04: DBC45400 7E00000E
	v_mfma_f32_32x32x64_f8f6f4 v[188:203], a[128:135], v[44:51], v[188:203]// 000000006A0C: D3AE00BC 0EF25980
	ds_read_b64_tr_b8 a[128:129], v15 offset:3072              // 000000006A14: DBC40C00 8000000F
	ds_read_b64_tr_b8 a[130:131], v16 offset:3072              // 000000006A1C: DBC40C00 82000010
	ds_read_b64_tr_b8 a[132:133], v15 offset:21504             // 000000006A24: DBC45400 8400000F
	ds_read_b64_tr_b8 a[134:135], v16 offset:21504             // 000000006A2C: DBC45400 86000010
	v_mov_b32_e32 v36, v21                                     // 000000006A34: 7E480315
	v_mov_b32_e32 v37, v21                                     // 000000006A38: 7E4A0315
	v_pk_mul_f32 v[76:77], v[36:37], v[76:77]                  // 000000006A3C: D3B1404C 18029924
	v_pk_mul_f32 v[78:79], v[36:37], v[78:79]                  // 000000006A44: D3B1404E 18029D24
	v_pk_mul_f32 v[80:81], v[36:37], v[80:81]                  // 000000006A4C: D3B14050 1802A124
	v_pk_mul_f32 v[82:83], v[36:37], v[82:83]                  // 000000006A54: D3B14052 1802A524
	v_pk_mul_f32 v[84:85], v[36:37], v[84:85]                  // 000000006A5C: D3B14054 1802A924
	v_pk_mul_f32 v[86:87], v[36:37], v[86:87]                  // 000000006A64: D3B14056 1802AD24
	v_pk_mul_f32 v[88:89], v[36:37], v[88:89]                  // 000000006A6C: D3B14058 1802B124
	v_pk_mul_f32 v[90:91], v[36:37], v[90:91]                  // 000000006A74: D3B1405A 1802B524
	v_pk_mul_f32 v[92:93], v[36:37], v[92:93]                  // 000000006A7C: D3B1405C 1802B924
	v_pk_mul_f32 v[94:95], v[36:37], v[94:95]                  // 000000006A84: D3B1405E 1802BD24
	v_pk_mul_f32 v[96:97], v[36:37], v[96:97]                  // 000000006A8C: D3B14060 1802C124
	v_pk_mul_f32 v[98:99], v[36:37], v[98:99]                  // 000000006A94: D3B14062 1802C524
	v_pk_mul_f32 v[100:101], v[36:37], v[100:101]              // 000000006A9C: D3B14064 1802C924
	v_pk_mul_f32 v[102:103], v[36:37], v[102:103]              // 000000006AA4: D3B14066 1802CD24
	v_pk_mul_f32 v[104:105], v[36:37], v[104:105]              // 000000006AAC: D3B14068 1802D124
	v_pk_mul_f32 v[106:107], v[36:37], v[106:107]              // 000000006AB4: D3B1406A 1802D524
	v_pk_mul_f32 v[108:109], v[36:37], v[108:109]              // 000000006ABC: D3B1406C 1802D924
	v_pk_mul_f32 v[110:111], v[36:37], v[110:111]              // 000000006AC4: D3B1406E 1802DD24
	v_pk_mul_f32 v[112:113], v[36:37], v[112:113]              // 000000006ACC: D3B14070 1802E124
	v_pk_mul_f32 v[114:115], v[36:37], v[114:115]              // 000000006AD4: D3B14072 1802E524
	v_pk_mul_f32 v[116:117], v[36:37], v[116:117]              // 000000006ADC: D3B14074 1802E924
	v_pk_mul_f32 v[118:119], v[36:37], v[118:119]              // 000000006AE4: D3B14076 1802ED24
	v_pk_mul_f32 v[120:121], v[36:37], v[120:121]              // 000000006AEC: D3B14078 1802F124
	v_pk_mul_f32 v[122:123], v[36:37], v[122:123]              // 000000006AF4: D3B1407A 1802F524
	v_pk_mul_f32 v[124:125], v[36:37], v[124:125]              // 000000006AFC: D3B1407C 1802F924
	v_pk_mul_f32 v[126:127], v[36:37], v[126:127]              // 000000006B04: D3B1407E 1802FD24
	v_pk_mul_f32 v[128:129], v[36:37], v[128:129]              // 000000006B0C: D3B14080 18030124
	v_pk_mul_f32 v[130:131], v[36:37], v[130:131]              // 000000006B14: D3B14082 18030524
	v_pk_mul_f32 v[132:133], v[36:37], v[132:133]              // 000000006B1C: D3B14084 18030924
	v_pk_mul_f32 v[134:135], v[36:37], v[134:135]              // 000000006B24: D3B14086 18030D24
	v_pk_mul_f32 v[136:137], v[36:37], v[136:137]              // 000000006B2C: D3B14088 18031124
	v_pk_mul_f32 v[138:139], v[36:37], v[138:139]              // 000000006B34: D3B1408A 18031524
	v_pk_mul_f32 v[140:141], v[36:37], v[140:141]              // 000000006B3C: D3B1408C 18031924
	v_pk_mul_f32 v[142:143], v[36:37], v[142:143]              // 000000006B44: D3B1408E 18031D24
	v_pk_mul_f32 v[144:145], v[36:37], v[144:145]              // 000000006B4C: D3B14090 18032124
	v_pk_mul_f32 v[146:147], v[36:37], v[146:147]              // 000000006B54: D3B14092 18032524
	v_pk_mul_f32 v[148:149], v[36:37], v[148:149]              // 000000006B5C: D3B14094 18032924
	v_pk_mul_f32 v[150:151], v[36:37], v[150:151]              // 000000006B64: D3B14096 18032D24
	v_pk_mul_f32 v[152:153], v[36:37], v[152:153]              // 000000006B6C: D3B14098 18033124
	v_pk_mul_f32 v[154:155], v[36:37], v[154:155]              // 000000006B74: D3B1409A 18033524
	v_pk_mul_f32 v[156:157], v[36:37], v[156:157]              // 000000006B7C: D3B1409C 18033924
	v_pk_mul_f32 v[158:159], v[36:37], v[158:159]              // 000000006B84: D3B1409E 18033D24
	v_pk_mul_f32 v[160:161], v[36:37], v[160:161]              // 000000006B8C: D3B140A0 18034124
	v_pk_mul_f32 v[162:163], v[36:37], v[162:163]              // 000000006B94: D3B140A2 18034524
	v_pk_mul_f32 v[164:165], v[36:37], v[164:165]              // 000000006B9C: D3B140A4 18034924
	v_pk_mul_f32 v[166:167], v[36:37], v[166:167]              // 000000006BA4: D3B140A6 18034D24
	v_pk_mul_f32 v[168:169], v[36:37], v[168:169]              // 000000006BAC: D3B140A8 18035124
	v_pk_mul_f32 v[170:171], v[36:37], v[170:171]              // 000000006BB4: D3B140AA 18035524
	v_pk_mul_f32 v[172:173], v[36:37], v[172:173]              // 000000006BBC: D3B140AC 18035924
	v_pk_mul_f32 v[174:175], v[36:37], v[174:175]              // 000000006BC4: D3B140AE 18035D24
	v_pk_mul_f32 v[176:177], v[36:37], v[176:177]              // 000000006BCC: D3B140B0 18036124
	v_pk_mul_f32 v[178:179], v[36:37], v[178:179]              // 000000006BD4: D3B140B2 18036524
	v_pk_mul_f32 v[180:181], v[36:37], v[180:181]              // 000000006BDC: D3B140B4 18036924
	v_pk_mul_f32 v[182:183], v[36:37], v[182:183]              // 000000006BE4: D3B140B6 18036D24
	v_pk_mul_f32 v[184:185], v[36:37], v[184:185]              // 000000006BEC: D3B140B8 18037124
	v_pk_mul_f32 v[186:187], v[36:37], v[186:187]              // 000000006BF4: D3B140BA 18037524
	v_pk_mul_f32 v[188:189], v[36:37], v[188:189]              // 000000006BFC: D3B140BC 18037924
	v_pk_mul_f32 v[190:191], v[36:37], v[190:191]              // 000000006C04: D3B140BE 18037D24
	v_pk_mul_f32 v[192:193], v[36:37], v[192:193]              // 000000006C0C: D3B140C0 18038124
	v_pk_mul_f32 v[194:195], v[36:37], v[194:195]              // 000000006C14: D3B140C2 18038524
	v_pk_mul_f32 v[196:197], v[36:37], v[196:197]              // 000000006C1C: D3B140C4 18038924
	v_pk_mul_f32 v[198:199], v[36:37], v[198:199]              // 000000006C24: D3B140C6 18038D24
	v_pk_mul_f32 v[200:201], v[36:37], v[200:201]              // 000000006C2C: D3B140C8 18039124
	v_pk_mul_f32 v[202:203], v[36:37], v[202:203]              // 000000006C34: D3B140CA 18039524
	s_waitcnt vmcnt(0)                                         // 000000006C3C: BF8C0F70
	s_barrier                                                  // 000000006C40: BF8A0000
	v_mfma_f32_32x32x64_f8f6f4 v[76:91], a[72:79], v[60:67], v[76:91]// 000000006C44: D3AE004C 0D327948
	ds_read_b128 a[72:75], v28                                 // 000000006C4C: DBFE0000 4800001C
	ds_read_b128 a[76:79], v29                                 // 000000006C54: DBFE0000 4C00001D
	v_mfma_f32_32x32x64_f8f6f4 v[92:107], a[80:87], v[60:67], v[92:107]// 000000006C5C: D3AE005C 0D727950
	ds_read_b128 a[80:83], v28 offset:1024                     // 000000006C64: DBFE0400 5000001C
	ds_read_b128 a[84:87], v29 offset:1024                     // 000000006C6C: DBFE0400 5400001D
	v_mfma_f32_32x32x64_f8f6f4 v[108:123], a[88:95], v[60:67], v[108:123]// 000000006C74: D3AE006C 0DB27958
	ds_read_b128 a[88:91], v28 offset:2048                     // 000000006C7C: DBFE0800 5800001C
	ds_read_b128 a[92:95], v29 offset:2048                     // 000000006C84: DBFE0800 5C00001D
	v_mfma_f32_32x32x64_f8f6f4 v[124:139], a[96:103], v[60:67], v[124:139]// 000000006C8C: D3AE007C 0DF27960
	ds_read_b128 a[96:99], v28 offset:3072                     // 000000006C94: DBFE0C00 6000001C
	ds_read_b128 a[100:103], v29 offset:3072                   // 000000006C9C: DBFE0C00 6400001D
	v_mfma_f32_32x32x64_f8f6f4 v[140:155], a[104:111], v[60:67], v[140:155]// 000000006CA4: D3AE008C 0E327968
	ds_read_b128 a[104:107], v28 offset:4096                   // 000000006CAC: DBFE1000 6800001C
	ds_read_b128 a[108:111], v29 offset:4096                   // 000000006CB4: DBFE1000 6C00001D
	v_mfma_f32_32x32x64_f8f6f4 v[156:171], a[112:119], v[60:67], v[156:171]// 000000006CBC: D3AE009C 0E727970
	ds_read_b128 a[112:115], v28 offset:5120                   // 000000006CC4: DBFE1400 7000001C
	ds_read_b128 a[116:119], v29 offset:5120                   // 000000006CCC: DBFE1400 7400001D
	v_mfma_f32_32x32x64_f8f6f4 v[172:187], a[120:127], v[60:67], v[172:187]// 000000006CD4: D3AE00AC 0EB27978
	ds_read_b128 a[120:123], v28 offset:6144                   // 000000006CDC: DBFE1800 7800001C
	ds_read_b128 a[124:127], v29 offset:6144                   // 000000006CE4: DBFE1800 7C00001D
	v_mfma_f32_32x32x64_f8f6f4 v[188:203], a[128:135], v[60:67], v[188:203]// 000000006CEC: D3AE00BC 0EF27980
	ds_read_b128 a[128:131], v28 offset:7168                   // 000000006CF4: DBFE1C00 8000001C
	ds_read_b128 a[132:135], v29 offset:7168                   // 000000006CFC: DBFE1C00 8400001D
	ds_read_b128 a[136:139], v28 offset:8192                   // 000000006D04: DBFE2000 8800001C
	ds_read_b128 a[140:143], v29 offset:8192                   // 000000006D0C: DBFE2000 8C00001D
	s_branch label_5CB8                                        // 000000006D14: BF8204A8

0000000000006d18 <label_4A18>:
	s_mov_b32 s56, 64                                          // 000000006D18: BEB800C0
	s_mul_i32 s83, s56, s71                                    // 000000006D1C: 92534738
	s_cmp_le_i32 s83, s82                                      // 000000006D20: BF055253
	s_cbranch_scc1 label_4BF4                                  // 000000006D24: BF850073
	v_and_b32_e32 v35, 31, v0                                  // 000000006D28: 2646009F
	v_lshrrev_b32_e32 v35, 3, v35                              // 000000006D2C: 20464683
	v_add_u32_e32 v35, s82, v35                                // 000000006D30: 68464652
	s_and_b32 s56, 2, s7                                       // 000000006D34: 86380782
	s_lshl_b32 s56, s56, 1                                     // 000000006D38: 8E388138
	v_add_u32_e32 v35, s56, v35                                // 000000006D3C: 68464638
	s_sub_u32 s56, s83, 64                                     // 000000006D40: 80B8C053
	v_lshrrev_b32_e32 v204, 5, v0                              // 000000006D44: 21980085
	v_mul_i32_i24_e32 v204, 4, v204                            // 000000006D48: 0D999884
	v_add_u32_e32 v204, s56, v204                              // 000000006D4C: 69999838
	s_and_b32 s56, s7, 1                                       // 000000006D50: 86388107
	s_mov_b32 s57, 32                                          // 000000006D54: BEB900A0
	s_mul_i32 s56, s57, s56                                    // 000000006D58: 92383839
	v_add_u32_e32 v204, s56, v204                              // 000000006D5C: 69999838
	v_add_u32_e32 v205, 1, v204                                // 000000006D60: 699B9881
	v_add_u32_e32 v206, 2, v204                                // 000000006D64: 699D9882
	v_add_u32_e32 v207, 3, v204                                // 000000006D68: 699F9883
	v_mov_b32_e32 v37, 0xff800000                              // 000000006D6C: 7E4A02FF FF800000
	v_cmp_le_i32_e64 s[36:37], v204, v35                       // 000000006D74: D0C30024 000247CC
	s_nop 0                                                    // 000000006D7C: BF800000
	v_cndmask_b32_e64 v44, v37, v44, s[36:37]                  // 000000006D80: D100002C 00925925
	v_add_u32_e32 v204, 8, v204                                // 000000006D88: 69999888
	v_cmp_le_i32_e64 s[36:37], v205, v35                       // 000000006D8C: D0C30024 000247CD
	s_nop 0                                                    // 000000006D94: BF800000
	v_cndmask_b32_e64 v45, v37, v45, s[36:37]                  // 000000006D98: D100002D 00925B25
	v_add_u32_e32 v205, 8, v205                                // 000000006DA0: 699B9A88
	v_cmp_le_i32_e64 s[36:37], v206, v35                       // 000000006DA4: D0C30024 000247CE
	s_nop 0                                                    // 000000006DAC: BF800000
	v_cndmask_b32_e64 v46, v37, v46, s[36:37]                  // 000000006DB0: D100002E 00925D25
	v_add_u32_e32 v206, 8, v206                                // 000000006DB8: 699D9C88
	v_cmp_le_i32_e64 s[36:37], v207, v35                       // 000000006DBC: D0C30024 000247CF
	s_nop 0                                                    // 000000006DC4: BF800000
	v_cndmask_b32_e64 v47, v37, v47, s[36:37]                  // 000000006DC8: D100002F 00925F25
	v_add_u32_e32 v207, 8, v207                                // 000000006DD0: 699F9E88
	v_cmp_le_i32_e64 s[36:37], v204, v35                       // 000000006DD4: D0C30024 000247CC
	s_nop 0                                                    // 000000006DDC: BF800000
	v_cndmask_b32_e64 v48, v37, v48, s[36:37]                  // 000000006DE0: D1000030 00926125
	v_add_u32_e32 v204, 8, v204                                // 000000006DE8: 69999888
	v_cmp_le_i32_e64 s[36:37], v205, v35                       // 000000006DEC: D0C30024 000247CD
	s_nop 0                                                    // 000000006DF4: BF800000
	v_cndmask_b32_e64 v49, v37, v49, s[36:37]                  // 000000006DF8: D1000031 00926325
	v_add_u32_e32 v205, 8, v205                                // 000000006E00: 699B9A88
	v_cmp_le_i32_e64 s[36:37], v206, v35                       // 000000006E04: D0C30024 000247CE
	s_nop 0                                                    // 000000006E0C: BF800000
	v_cndmask_b32_e64 v50, v37, v50, s[36:37]                  // 000000006E10: D1000032 00926525
	v_add_u32_e32 v206, 8, v206                                // 000000006E18: 699D9C88
	v_cmp_le_i32_e64 s[36:37], v207, v35                       // 000000006E1C: D0C30024 000247CF
	s_nop 0                                                    // 000000006E24: BF800000
	v_cndmask_b32_e64 v51, v37, v51, s[36:37]                  // 000000006E28: D1000033 00926725
	v_add_u32_e32 v207, 8, v207                                // 000000006E30: 699F9E88
	v_cmp_le_i32_e64 s[36:37], v204, v35                       // 000000006E34: D0C30024 000247CC
	s_nop 0                                                    // 000000006E3C: BF800000
	v_cndmask_b32_e64 v52, v37, v52, s[36:37]                  // 000000006E40: D1000034 00926925
	v_add_u32_e32 v204, 8, v204                                // 000000006E48: 69999888
	v_cmp_le_i32_e64 s[36:37], v205, v35                       // 000000006E4C: D0C30024 000247CD
	s_nop 0                                                    // 000000006E54: BF800000
	v_cndmask_b32_e64 v53, v37, v53, s[36:37]                  // 000000006E58: D1000035 00926B25
	v_add_u32_e32 v205, 8, v205                                // 000000006E60: 699B9A88
	v_cmp_le_i32_e64 s[36:37], v206, v35                       // 000000006E64: D0C30024 000247CE
	s_nop 0                                                    // 000000006E6C: BF800000
	v_cndmask_b32_e64 v54, v37, v54, s[36:37]                  // 000000006E70: D1000036 00926D25
	v_add_u32_e32 v206, 8, v206                                // 000000006E78: 699D9C88
	v_cmp_le_i32_e64 s[36:37], v207, v35                       // 000000006E7C: D0C30024 000247CF
	s_nop 0                                                    // 000000006E84: BF800000
	v_cndmask_b32_e64 v55, v37, v55, s[36:37]                  // 000000006E88: D1000037 00926F25
	v_add_u32_e32 v207, 8, v207                                // 000000006E90: 699F9E88
	v_cmp_le_i32_e64 s[36:37], v204, v35                       // 000000006E94: D0C30024 000247CC
	s_nop 0                                                    // 000000006E9C: BF800000
	v_cndmask_b32_e64 v56, v37, v56, s[36:37]                  // 000000006EA0: D1000038 00927125
	v_add_u32_e32 v204, 8, v204                                // 000000006EA8: 69999888
	v_cmp_le_i32_e64 s[36:37], v205, v35                       // 000000006EAC: D0C30024 000247CD
	s_nop 0                                                    // 000000006EB4: BF800000
	v_cndmask_b32_e64 v57, v37, v57, s[36:37]                  // 000000006EB8: D1000039 00927325
	v_add_u32_e32 v205, 8, v205                                // 000000006EC0: 699B9A88
	v_cmp_le_i32_e64 s[36:37], v206, v35                       // 000000006EC4: D0C30024 000247CE
	s_nop 0                                                    // 000000006ECC: BF800000
	v_cndmask_b32_e64 v58, v37, v58, s[36:37]                  // 000000006ED0: D100003A 00927525
	v_add_u32_e32 v206, 8, v206                                // 000000006ED8: 699D9C88
	v_cmp_le_i32_e64 s[36:37], v207, v35                       // 000000006EDC: D0C30024 000247CF
	s_nop 0                                                    // 000000006EE4: BF800000
	v_cndmask_b32_e64 v59, v37, v59, s[36:37]                  // 000000006EE8: D100003B 00927725
	v_add_u32_e32 v207, 8, v207                                // 000000006EF0: 699F9E88

0000000000006ef4 <label_4BF4>:
	s_add_u32 s83, s84, s83                                    // 000000006EF4: 80535354
	s_nop 2                                                    // 000000006EF8: BF800002
	v_mov_b32_e32 v213, v44                                    // 000000006EFC: 7FAA032C
	v_max3_f32 v213, v44, v45, v213                            // 000000006F00: D1D300D5 07565B2C
	v_max3_f32 v213, v46, v47, v213                            // 000000006F08: D1D300D5 07565F2E
	v_max3_f32 v213, v48, v49, v213                            // 000000006F10: D1D300D5 07566330
	v_max3_f32 v213, v50, v51, v213                            // 000000006F18: D1D300D5 07566732
	v_max3_f32 v213, v52, v53, v213                            // 000000006F20: D1D300D5 07566B34
	v_max3_f32 v213, v54, v55, v213                            // 000000006F28: D1D300D5 07566F36
	v_max3_f32 v213, v56, v57, v213                            // 000000006F30: D1D300D5 07567338
	v_max3_f32 v213, v58, v59, v213                            // 000000006F38: D1D300D5 0756773A
	v_mov_b32_e32 v35, v213                                    // 000000006F40: 7E4603D5
	v_mov_b32_e32 v36, v213                                    // 000000006F44: 7E4803D5
	s_nop 1                                                    // 000000006F48: BF800001
	v_permlane32_swap_b32_e32 v35, v36                         // 000000006F4C: 7E46B524
	v_max3_f32 v213, v35, v36, v213                            // 000000006F50: D1D300D5 07564923
	ds_write_b32 v41, v213                                     // 000000006F58: D81A0000 0000D529
	s_waitcnt lgkmcnt(0)                                       // 000000006F60: BF8CC07F
	s_barrier                                                  // 000000006F64: BF8A0000
	ds_read_b32 v35, v40                                       // 000000006F68: D86C0000 23000028
	ds_read_b32 v36, v40 offset:256                            // 000000006F70: D86C0100 24000028
	s_waitcnt lgkmcnt(0)                                       // 000000006F78: BF8CC07F
	v_max3_f32 v213, v35, v36, v213                            // 000000006F7C: D1D300D5 07564923
	v_mov_b32_e32 v35, 0xff800000                              // 000000006F84: 7E4602FF FF800000
	v_cmp_eq_u32_e64 s[36:37], v35, v2                         // 000000006F8C: D0CA0024 00020523
	v_max_f32_e32 v216, v213, v2                               // 000000006F94: 17B005D5
	v_sub_f32_e32 v21, v2, v216                                // 000000006F98: 042BB102
	v_cndmask_b32_e64 v21, v21, 0, s[36:37]                    // 000000006F9C: D1000015 00910115
	v_mov_b32_e32 v2, v216                                     // 000000006FA4: 7E0403D8
	v_mul_f32_e32 v212, s5, v216                               // 000000006FA8: 0BA9B005
	v_mul_f32_e32 v21, s5, v21                                 // 000000006FAC: 0A2A2A05
	v_exp_f32_e32 v21, v21                                     // 000000006FB0: 7E2A4115
	v_fma_f32 v44, v44, s5, -v212                              // 000000006FB4: D1CB002C 87500B2C
	v_fma_f32 v45, v45, s5, -v212                              // 000000006FBC: D1CB002D 87500B2D
	v_fma_f32 v46, v46, s5, -v212                              // 000000006FC4: D1CB002E 87500B2E
	v_fma_f32 v47, v47, s5, -v212                              // 000000006FCC: D1CB002F 87500B2F
	v_fma_f32 v48, v48, s5, -v212                              // 000000006FD4: D1CB0030 87500B30
	v_fma_f32 v49, v49, s5, -v212                              // 000000006FDC: D1CB0031 87500B31
	v_fma_f32 v50, v50, s5, -v212                              // 000000006FE4: D1CB0032 87500B32
	v_fma_f32 v51, v51, s5, -v212                              // 000000006FEC: D1CB0033 87500B33
	v_fma_f32 v52, v52, s5, -v212                              // 000000006FF4: D1CB0034 87500B34
	v_fma_f32 v53, v53, s5, -v212                              // 000000006FFC: D1CB0035 87500B35
	v_fma_f32 v54, v54, s5, -v212                              // 000000007004: D1CB0036 87500B36
	v_fma_f32 v55, v55, s5, -v212                              // 00000000700C: D1CB0037 87500B37
	v_fma_f32 v56, v56, s5, -v212                              // 000000007014: D1CB0038 87500B38
	v_fma_f32 v57, v57, s5, -v212                              // 00000000701C: D1CB0039 87500B39
	v_fma_f32 v58, v58, s5, -v212                              // 000000007024: D1CB003A 87500B3A
	v_fma_f32 v59, v59, s5, -v212                              // 00000000702C: D1CB003B 87500B3B
	v_mov_b32_e32 v35, 0xffc00000                              // 000000007034: 7E4602FF FFC00000
	v_exp_f32_e32 v44, v44                                     // 00000000703C: 7E58412C
	v_exp_f32_e32 v45, v45                                     // 000000007040: 7E5A412D
	v_exp_f32_e32 v46, v46                                     // 000000007044: 7E5C412E
	v_exp_f32_e32 v47, v47                                     // 000000007048: 7E5E412F
	v_exp_f32_e32 v48, v48                                     // 00000000704C: 7E604130
	v_exp_f32_e32 v49, v49                                     // 000000007050: 7E624131
	v_exp_f32_e32 v50, v50                                     // 000000007054: 7E644132
	v_exp_f32_e32 v51, v51                                     // 000000007058: 7E664133
	v_exp_f32_e32 v52, v52                                     // 00000000705C: 7E684134
	v_exp_f32_e32 v53, v53                                     // 000000007060: 7E6A4135
	v_exp_f32_e32 v54, v54                                     // 000000007064: 7E6C4136
	v_exp_f32_e32 v55, v55                                     // 000000007068: 7E6E4137
	v_exp_f32_e32 v56, v56                                     // 00000000706C: 7E704138
	v_exp_f32_e32 v57, v57                                     // 000000007070: 7E724139
	v_exp_f32_e32 v58, v58                                     // 000000007074: 7E74413A
	v_exp_f32_e32 v59, v59                                     // 000000007078: 7E76413B
	v_mul_f32_e32 v4, v21, v4                                  // 00000000707C: 0A080915
	v_mov_b32_e32 v35, v44                                     // 000000007080: 7E46032C
	v_add_f32_e32 v35, v45, v35                                // 000000007084: 0246472D
	v_add_f32_e32 v35, v46, v35                                // 000000007088: 0246472E
	v_add_f32_e32 v35, v47, v35                                // 00000000708C: 0246472F
	v_add_f32_e32 v35, v48, v35                                // 000000007090: 02464730
	v_add_f32_e32 v35, v49, v35                                // 000000007094: 02464731
	;; [unrolled: 1-line block ×3, first 2 shown]
	v_add_f32_e32 v35, v51, v35                                // 00000000709C: 02464733
	v_add_f32_e32 v35, v52, v35                                // 0000000070A0: 02464734
	v_add_f32_e32 v35, v53, v35                                // 0000000070A4: 02464735
	v_add_f32_e32 v35, v54, v35                                // 0000000070A8: 02464736
	v_add_f32_e32 v35, v55, v35                                // 0000000070AC: 02464737
	v_add_f32_e32 v35, v56, v35                                // 0000000070B0: 02464738
	v_add_f32_e32 v35, v57, v35                                // 0000000070B4: 02464739
	v_add_f32_e32 v35, v58, v35                                // 0000000070B8: 0246473A
	v_add_f32_e32 v35, v59, v35                                // 0000000070BC: 0246473B
	v_add_f32_e32 v4, v35, v4                                  // 0000000070C0: 02080923
	v_cvt_pk_fp8_f32 v44, v44, v45                             // 0000000070C4: D2A2002C 00025B2C
	v_cvt_pk_fp8_f32 v44, v46, v47 op_sel:[0,0,1]              // 0000000070CC: D2A2402C 00025F2E
	v_cvt_pk_fp8_f32 v45, v48, v49                             // 0000000070D4: D2A2002D 00026330
	v_cvt_pk_fp8_f32 v45, v50, v51 op_sel:[0,0,1]              // 0000000070DC: D2A2402D 00026732
	v_cvt_pk_fp8_f32 v46, v52, v53                             // 0000000070E4: D2A2002E 00026B34
	v_cvt_pk_fp8_f32 v46, v54, v55 op_sel:[0,0,1]              // 0000000070EC: D2A2402E 00026F36
	v_cvt_pk_fp8_f32 v47, v56, v57                             // 0000000070F4: D2A2002F 00027338
	v_cvt_pk_fp8_f32 v47, v58, v59 op_sel:[0,0,1]              // 0000000070FC: D2A2402F 0002773A
	ds_write_b128 v43, v[44:47] offset:1024                    // 000000007104: D9BE0400 00002C2B
	s_waitcnt lgkmcnt(0)                                       // 00000000710C: BF8CC07F
	s_barrier                                                  // 000000007110: BF8A0000
	ds_read_b128 v[44:47], v42 offset:1024                     // 000000007114: D9FE0400 2C00002A
	ds_read_b128 v[48:51], v42 offset:2048                     // 00000000711C: D9FE0800 3000002A
	s_waitcnt lgkmcnt(0)                                       // 000000007124: BF8CC07F
	v_permlane32_swap_b32_e32 v44, v46                         // 000000007128: 7E58B52E
	v_permlane32_swap_b32_e32 v45, v47                         // 00000000712C: 7E5AB52F
	v_swap_b32 v45, v46                                        // 000000007130: 7E5AA32E
	v_permlane32_swap_b32_e32 v48, v50                         // 000000007134: 7E60B532
	v_permlane32_swap_b32_e32 v49, v51                         // 000000007138: 7E62B533
	v_swap_b32 v49, v50                                        // 00000000713C: 7E62A332
	ds_read_b64_tr_b8 a[72:73], v13                            // 000000007140: DBC40000 4800000D
	ds_read_b64_tr_b8 a[74:75], v14                            // 000000007148: DBC40000 4A00000E
	ds_read_b64_tr_b8 a[76:77], v13 offset:18432               // 000000007150: DBC44800 4C00000D
	ds_read_b64_tr_b8 a[78:79], v14 offset:18432               // 000000007158: DBC44800 4E00000E
	ds_read_b64_tr_b8 a[80:81], v15                            // 000000007160: DBC40000 5000000F
	ds_read_b64_tr_b8 a[82:83], v16                            // 000000007168: DBC40000 52000010
	ds_read_b64_tr_b8 a[84:85], v15 offset:18432               // 000000007170: DBC44800 5400000F
	ds_read_b64_tr_b8 a[86:87], v16 offset:18432               // 000000007178: DBC44800 56000010
	ds_read_b64_tr_b8 a[88:89], v13 offset:1024                // 000000007180: DBC40400 5800000D
	ds_read_b64_tr_b8 a[90:91], v14 offset:1024                // 000000007188: DBC40400 5A00000E
	ds_read_b64_tr_b8 a[92:93], v13 offset:19456               // 000000007190: DBC44C00 5C00000D
	ds_read_b64_tr_b8 a[94:95], v14 offset:19456               // 000000007198: DBC44C00 5E00000E
	ds_read_b64_tr_b8 a[96:97], v15 offset:1024                // 0000000071A0: DBC40400 6000000F
	ds_read_b64_tr_b8 a[98:99], v16 offset:1024                // 0000000071A8: DBC40400 62000010
	ds_read_b64_tr_b8 a[100:101], v15 offset:19456             // 0000000071B0: DBC44C00 6400000F
	ds_read_b64_tr_b8 a[102:103], v16 offset:19456             // 0000000071B8: DBC44C00 66000010
	ds_read_b64_tr_b8 a[104:105], v13 offset:2048              // 0000000071C0: DBC40800 6800000D
	ds_read_b64_tr_b8 a[106:107], v14 offset:2048              // 0000000071C8: DBC40800 6A00000E
	ds_read_b64_tr_b8 a[108:109], v13 offset:20480             // 0000000071D0: DBC45000 6C00000D
	ds_read_b64_tr_b8 a[110:111], v14 offset:20480             // 0000000071D8: DBC45000 6E00000E
	ds_read_b64_tr_b8 a[112:113], v15 offset:2048              // 0000000071E0: DBC40800 7000000F
	ds_read_b64_tr_b8 a[114:115], v16 offset:2048              // 0000000071E8: DBC40800 72000010
	ds_read_b64_tr_b8 a[116:117], v15 offset:20480             // 0000000071F0: DBC45000 7400000F
	ds_read_b64_tr_b8 a[118:119], v16 offset:20480             // 0000000071F8: DBC45000 76000010
	ds_read_b64_tr_b8 a[120:121], v13 offset:3072              // 000000007200: DBC40C00 7800000D
	ds_read_b64_tr_b8 a[122:123], v14 offset:3072              // 000000007208: DBC40C00 7A00000E
	ds_read_b64_tr_b8 a[124:125], v13 offset:21504             // 000000007210: DBC45400 7C00000D
	ds_read_b64_tr_b8 a[126:127], v14 offset:21504             // 000000007218: DBC45400 7E00000E
	ds_read_b64_tr_b8 a[128:129], v15 offset:3072              // 000000007220: DBC40C00 8000000F
	ds_read_b64_tr_b8 a[130:131], v16 offset:3072              // 000000007228: DBC40C00 82000010
	ds_read_b64_tr_b8 a[132:133], v15 offset:21504             // 000000007230: DBC45400 8400000F
	ds_read_b64_tr_b8 a[134:135], v16 offset:21504             // 000000007238: DBC45400 86000010
	s_waitcnt lgkmcnt(4)                                       // 000000007240: BF8CC47F
	v_mfma_f32_32x32x64_f8f6f4 v[76:91], a[72:79], v[60:67], v[76:91]// 000000007244: D3AE004C 0D327948
	ds_read_b64_tr_b8 a[72:73], v17                            // 00000000724C: DBC40000 48000011
	ds_read_b64_tr_b8 a[74:75], v18                            // 000000007254: DBC40000 4A000012
	ds_read_b64_tr_b8 a[76:77], v17 offset:18432               // 00000000725C: DBC44800 4C000011
	ds_read_b64_tr_b8 a[78:79], v18 offset:18432               // 000000007264: DBC44800 4E000012
	v_mfma_f32_32x32x64_f8f6f4 v[92:107], a[80:87], v[60:67], v[92:107]// 00000000726C: D3AE005C 0D727950
	ds_read_b64_tr_b8 a[80:81], v19                            // 000000007274: DBC40000 50000013
	ds_read_b64_tr_b8 a[82:83], v20                            // 00000000727C: DBC40000 52000014
	ds_read_b64_tr_b8 a[84:85], v19 offset:18432               // 000000007284: DBC44800 54000013
	ds_read_b64_tr_b8 a[86:87], v20 offset:18432               // 00000000728C: DBC44800 56000014
	v_mfma_f32_32x32x64_f8f6f4 v[108:123], a[88:95], v[60:67], v[108:123]// 000000007294: D3AE006C 0DB27958
	ds_read_b64_tr_b8 a[88:89], v17 offset:1024                // 00000000729C: DBC40400 58000011
	ds_read_b64_tr_b8 a[90:91], v18 offset:1024                // 0000000072A4: DBC40400 5A000012
	ds_read_b64_tr_b8 a[92:93], v17 offset:19456               // 0000000072AC: DBC44C00 5C000011
	ds_read_b64_tr_b8 a[94:95], v18 offset:19456               // 0000000072B4: DBC44C00 5E000012
	v_mfma_f32_32x32x64_f8f6f4 v[124:139], a[96:103], v[60:67], v[124:139]// 0000000072BC: D3AE007C 0DF27960
	ds_read_b64_tr_b8 a[96:97], v19 offset:1024                // 0000000072C4: DBC40400 60000013
	ds_read_b64_tr_b8 a[98:99], v20 offset:1024                // 0000000072CC: DBC40400 62000014
	ds_read_b64_tr_b8 a[100:101], v19 offset:19456             // 0000000072D4: DBC44C00 64000013
	ds_read_b64_tr_b8 a[102:103], v20 offset:19456             // 0000000072DC: DBC44C00 66000014
	v_mfma_f32_32x32x64_f8f6f4 v[140:155], a[104:111], v[60:67], v[140:155]// 0000000072E4: D3AE008C 0E327968
	ds_read_b64_tr_b8 a[104:105], v17 offset:2048              // 0000000072EC: DBC40800 68000011
	ds_read_b64_tr_b8 a[106:107], v18 offset:2048              // 0000000072F4: DBC40800 6A000012
	ds_read_b64_tr_b8 a[108:109], v17 offset:20480             // 0000000072FC: DBC45000 6C000011
	ds_read_b64_tr_b8 a[110:111], v18 offset:20480             // 000000007304: DBC45000 6E000012
	v_mfma_f32_32x32x64_f8f6f4 v[156:171], a[112:119], v[60:67], v[156:171]// 00000000730C: D3AE009C 0E727970
	ds_read_b64_tr_b8 a[112:113], v19 offset:2048              // 000000007314: DBC40800 70000013
	ds_read_b64_tr_b8 a[114:115], v20 offset:2048              // 00000000731C: DBC40800 72000014
	ds_read_b64_tr_b8 a[116:117], v19 offset:20480             // 000000007324: DBC45000 74000013
	ds_read_b64_tr_b8 a[118:119], v20 offset:20480             // 00000000732C: DBC45000 76000014
	v_mfma_f32_32x32x64_f8f6f4 v[172:187], a[120:127], v[60:67], v[172:187]// 000000007334: D3AE00AC 0EB27978
	ds_read_b64_tr_b8 a[120:121], v17 offset:3072              // 00000000733C: DBC40C00 78000011
	ds_read_b64_tr_b8 a[122:123], v18 offset:3072              // 000000007344: DBC40C00 7A000012
	ds_read_b64_tr_b8 a[124:125], v17 offset:21504             // 00000000734C: DBC45400 7C000011
	ds_read_b64_tr_b8 a[126:127], v18 offset:21504             // 000000007354: DBC45400 7E000012
	v_mfma_f32_32x32x64_f8f6f4 v[188:203], a[128:135], v[60:67], v[188:203]// 00000000735C: D3AE00BC 0EF27980
	ds_read_b64_tr_b8 a[128:129], v19 offset:3072              // 000000007364: DBC40C00 80000013
	ds_read_b64_tr_b8 a[130:131], v20 offset:3072              // 00000000736C: DBC40C00 82000014
	ds_read_b64_tr_b8 a[132:133], v19 offset:21504             // 000000007374: DBC45400 84000013
	ds_read_b64_tr_b8 a[134:135], v20 offset:21504             // 00000000737C: DBC45400 86000014
	v_mov_b32_e32 v36, v21                                     // 000000007384: 7E480315
	v_mov_b32_e32 v37, v21                                     // 000000007388: 7E4A0315
	v_pk_mul_f32 v[76:77], v[36:37], v[76:77]                  // 00000000738C: D3B1404C 18029924
	v_pk_mul_f32 v[78:79], v[36:37], v[78:79]                  // 000000007394: D3B1404E 18029D24
	v_pk_mul_f32 v[80:81], v[36:37], v[80:81]                  // 00000000739C: D3B14050 1802A124
	v_pk_mul_f32 v[82:83], v[36:37], v[82:83]                  // 0000000073A4: D3B14052 1802A524
	v_pk_mul_f32 v[84:85], v[36:37], v[84:85]                  // 0000000073AC: D3B14054 1802A924
	v_pk_mul_f32 v[86:87], v[36:37], v[86:87]                  // 0000000073B4: D3B14056 1802AD24
	v_pk_mul_f32 v[88:89], v[36:37], v[88:89]                  // 0000000073BC: D3B14058 1802B124
	v_pk_mul_f32 v[90:91], v[36:37], v[90:91]                  // 0000000073C4: D3B1405A 1802B524
	v_pk_mul_f32 v[92:93], v[36:37], v[92:93]                  // 0000000073CC: D3B1405C 1802B924
	v_pk_mul_f32 v[94:95], v[36:37], v[94:95]                  // 0000000073D4: D3B1405E 1802BD24
	v_pk_mul_f32 v[96:97], v[36:37], v[96:97]                  // 0000000073DC: D3B14060 1802C124
	v_pk_mul_f32 v[98:99], v[36:37], v[98:99]                  // 0000000073E4: D3B14062 1802C524
	v_pk_mul_f32 v[100:101], v[36:37], v[100:101]              // 0000000073EC: D3B14064 1802C924
	v_pk_mul_f32 v[102:103], v[36:37], v[102:103]              // 0000000073F4: D3B14066 1802CD24
	v_pk_mul_f32 v[104:105], v[36:37], v[104:105]              // 0000000073FC: D3B14068 1802D124
	v_pk_mul_f32 v[106:107], v[36:37], v[106:107]              // 000000007404: D3B1406A 1802D524
	v_pk_mul_f32 v[108:109], v[36:37], v[108:109]              // 00000000740C: D3B1406C 1802D924
	v_pk_mul_f32 v[110:111], v[36:37], v[110:111]              // 000000007414: D3B1406E 1802DD24
	v_pk_mul_f32 v[112:113], v[36:37], v[112:113]              // 00000000741C: D3B14070 1802E124
	v_pk_mul_f32 v[114:115], v[36:37], v[114:115]              // 000000007424: D3B14072 1802E524
	v_pk_mul_f32 v[116:117], v[36:37], v[116:117]              // 00000000742C: D3B14074 1802E924
	v_pk_mul_f32 v[118:119], v[36:37], v[118:119]              // 000000007434: D3B14076 1802ED24
	v_pk_mul_f32 v[120:121], v[36:37], v[120:121]              // 00000000743C: D3B14078 1802F124
	v_pk_mul_f32 v[122:123], v[36:37], v[122:123]              // 000000007444: D3B1407A 1802F524
	v_pk_mul_f32 v[124:125], v[36:37], v[124:125]              // 00000000744C: D3B1407C 1802F924
	v_pk_mul_f32 v[126:127], v[36:37], v[126:127]              // 000000007454: D3B1407E 1802FD24
	v_pk_mul_f32 v[128:129], v[36:37], v[128:129]              // 00000000745C: D3B14080 18030124
	v_pk_mul_f32 v[130:131], v[36:37], v[130:131]              // 000000007464: D3B14082 18030524
	v_pk_mul_f32 v[132:133], v[36:37], v[132:133]              // 00000000746C: D3B14084 18030924
	v_pk_mul_f32 v[134:135], v[36:37], v[134:135]              // 000000007474: D3B14086 18030D24
	v_pk_mul_f32 v[136:137], v[36:37], v[136:137]              // 00000000747C: D3B14088 18031124
	v_pk_mul_f32 v[138:139], v[36:37], v[138:139]              // 000000007484: D3B1408A 18031524
	v_pk_mul_f32 v[140:141], v[36:37], v[140:141]              // 00000000748C: D3B1408C 18031924
	v_pk_mul_f32 v[142:143], v[36:37], v[142:143]              // 000000007494: D3B1408E 18031D24
	v_pk_mul_f32 v[144:145], v[36:37], v[144:145]              // 00000000749C: D3B14090 18032124
	v_pk_mul_f32 v[146:147], v[36:37], v[146:147]              // 0000000074A4: D3B14092 18032524
	v_pk_mul_f32 v[148:149], v[36:37], v[148:149]              // 0000000074AC: D3B14094 18032924
	v_pk_mul_f32 v[150:151], v[36:37], v[150:151]              // 0000000074B4: D3B14096 18032D24
	v_pk_mul_f32 v[152:153], v[36:37], v[152:153]              // 0000000074BC: D3B14098 18033124
	v_pk_mul_f32 v[154:155], v[36:37], v[154:155]              // 0000000074C4: D3B1409A 18033524
	v_pk_mul_f32 v[156:157], v[36:37], v[156:157]              // 0000000074CC: D3B1409C 18033924
	v_pk_mul_f32 v[158:159], v[36:37], v[158:159]              // 0000000074D4: D3B1409E 18033D24
	v_pk_mul_f32 v[160:161], v[36:37], v[160:161]              // 0000000074DC: D3B140A0 18034124
	v_pk_mul_f32 v[162:163], v[36:37], v[162:163]              // 0000000074E4: D3B140A2 18034524
	v_pk_mul_f32 v[164:165], v[36:37], v[164:165]              // 0000000074EC: D3B140A4 18034924
	v_pk_mul_f32 v[166:167], v[36:37], v[166:167]              // 0000000074F4: D3B140A6 18034D24
	v_pk_mul_f32 v[168:169], v[36:37], v[168:169]              // 0000000074FC: D3B140A8 18035124
	v_pk_mul_f32 v[170:171], v[36:37], v[170:171]              // 000000007504: D3B140AA 18035524
	v_pk_mul_f32 v[172:173], v[36:37], v[172:173]              // 00000000750C: D3B140AC 18035924
	v_pk_mul_f32 v[174:175], v[36:37], v[174:175]              // 000000007514: D3B140AE 18035D24
	v_pk_mul_f32 v[176:177], v[36:37], v[176:177]              // 00000000751C: D3B140B0 18036124
	v_pk_mul_f32 v[178:179], v[36:37], v[178:179]              // 000000007524: D3B140B2 18036524
	v_pk_mul_f32 v[180:181], v[36:37], v[180:181]              // 00000000752C: D3B140B4 18036924
	v_pk_mul_f32 v[182:183], v[36:37], v[182:183]              // 000000007534: D3B140B6 18036D24
	v_pk_mul_f32 v[184:185], v[36:37], v[184:185]              // 00000000753C: D3B140B8 18037124
	v_pk_mul_f32 v[186:187], v[36:37], v[186:187]              // 000000007544: D3B140BA 18037524
	v_pk_mul_f32 v[188:189], v[36:37], v[188:189]              // 00000000754C: D3B140BC 18037924
	v_pk_mul_f32 v[190:191], v[36:37], v[190:191]              // 000000007554: D3B140BE 18037D24
	v_pk_mul_f32 v[192:193], v[36:37], v[192:193]              // 00000000755C: D3B140C0 18038124
	v_pk_mul_f32 v[194:195], v[36:37], v[194:195]              // 000000007564: D3B140C2 18038524
	v_pk_mul_f32 v[196:197], v[36:37], v[196:197]              // 00000000756C: D3B140C4 18038924
	v_pk_mul_f32 v[198:199], v[36:37], v[198:199]              // 000000007574: D3B140C6 18038D24
	v_pk_mul_f32 v[200:201], v[36:37], v[200:201]              // 00000000757C: D3B140C8 18039124
	v_pk_mul_f32 v[202:203], v[36:37], v[202:203]              // 000000007584: D3B140CA 18039524
	s_waitcnt vmcnt(0)                                         // 00000000758C: BF8C0F70
	s_barrier                                                  // 000000007590: BF8A0000
	v_mfma_f32_32x32x64_f8f6f4 v[76:91], a[72:79], v[44:51], v[76:91]// 000000007594: D3AE004C 0D325948
	ds_read_b128 a[72:75], v22                                 // 00000000759C: DBFE0000 48000016
	ds_read_b128 a[76:79], v23                                 // 0000000075A4: DBFE0000 4C000017
	v_mfma_f32_32x32x64_f8f6f4 v[92:107], a[80:87], v[44:51], v[92:107]// 0000000075AC: D3AE005C 0D725950
	ds_read_b128 a[80:83], v22 offset:1024                     // 0000000075B4: DBFE0400 50000016
	ds_read_b128 a[84:87], v23 offset:1024                     // 0000000075BC: DBFE0400 54000017
	v_mfma_f32_32x32x64_f8f6f4 v[108:123], a[88:95], v[44:51], v[108:123]// 0000000075C4: D3AE006C 0DB25958
	ds_read_b128 a[88:91], v22 offset:2048                     // 0000000075CC: DBFE0800 58000016
	ds_read_b128 a[92:95], v23 offset:2048                     // 0000000075D4: DBFE0800 5C000017
	v_mfma_f32_32x32x64_f8f6f4 v[124:139], a[96:103], v[44:51], v[124:139]// 0000000075DC: D3AE007C 0DF25960
	ds_read_b128 a[96:99], v22 offset:3072                     // 0000000075E4: DBFE0C00 60000016
	ds_read_b128 a[100:103], v23 offset:3072                   // 0000000075EC: DBFE0C00 64000017
	v_mfma_f32_32x32x64_f8f6f4 v[140:155], a[104:111], v[44:51], v[140:155]// 0000000075F4: D3AE008C 0E325968
	ds_read_b128 a[104:107], v22 offset:4096                   // 0000000075FC: DBFE1000 68000016
	ds_read_b128 a[108:111], v23 offset:4096                   // 000000007604: DBFE1000 6C000017
	v_mfma_f32_32x32x64_f8f6f4 v[156:171], a[112:119], v[44:51], v[156:171]// 00000000760C: D3AE009C 0E725970
	ds_read_b128 a[112:115], v22 offset:5120                   // 000000007614: DBFE1400 70000016
	ds_read_b128 a[116:119], v23 offset:5120                   // 00000000761C: DBFE1400 74000017
	v_mfma_f32_32x32x64_f8f6f4 v[172:187], a[120:127], v[44:51], v[172:187]// 000000007624: D3AE00AC 0EB25978
	ds_read_b128 a[120:123], v22 offset:6144                   // 00000000762C: DBFE1800 78000016
	ds_read_b128 a[124:127], v23 offset:6144                   // 000000007634: DBFE1800 7C000017
	v_mfma_f32_32x32x64_f8f6f4 v[188:203], a[128:135], v[44:51], v[188:203]// 00000000763C: D3AE00BC 0EF25980
	ds_read_b128 a[128:131], v22 offset:7168                   // 000000007644: DBFE1C00 80000016
	ds_read_b128 a[132:135], v23 offset:7168                   // 00000000764C: DBFE1C00 84000017
	ds_read_b128 a[136:139], v22 offset:8192                   // 000000007654: DBFE2000 88000016
	ds_read_b128 a[140:143], v23 offset:8192                   // 00000000765C: DBFE2000 8C000017
	s_branch label_5CB8                                        // 000000007664: BF820254

0000000000007668 <label_5368>:
	s_mov_b32 s56, 64                                          // 000000007668: BEB800C0
	s_mul_i32 s83, s56, s71                                    // 00000000766C: 92534738
	s_cmp_le_i32 s83, s82                                      // 000000007670: BF055253
	s_cbranch_scc1 label_5544                                  // 000000007674: BF850073
	v_and_b32_e32 v35, 31, v0                                  // 000000007678: 2646009F
	v_lshrrev_b32_e32 v35, 3, v35                              // 00000000767C: 20464683
	v_add_u32_e32 v35, s82, v35                                // 000000007680: 68464652
	s_and_b32 s56, 2, s7                                       // 000000007684: 86380782
	s_lshl_b32 s56, s56, 1                                     // 000000007688: 8E388138
	v_add_u32_e32 v35, s56, v35                                // 00000000768C: 68464638
	s_sub_u32 s56, s83, 64                                     // 000000007690: 80B8C053
	v_lshrrev_b32_e32 v204, 5, v0                              // 000000007694: 21980085
	v_mul_i32_i24_e32 v204, 4, v204                            // 000000007698: 0D999884
	v_add_u32_e32 v204, s56, v204                              // 00000000769C: 69999838
	s_and_b32 s56, s7, 1                                       // 0000000076A0: 86388107
	s_mov_b32 s57, 32                                          // 0000000076A4: BEB900A0
	s_mul_i32 s56, s57, s56                                    // 0000000076A8: 92383839
	v_add_u32_e32 v204, s56, v204                              // 0000000076AC: 69999838
	v_add_u32_e32 v205, 1, v204                                // 0000000076B0: 699B9881
	v_add_u32_e32 v206, 2, v204                                // 0000000076B4: 699D9882
	v_add_u32_e32 v207, 3, v204                                // 0000000076B8: 699F9883
	v_mov_b32_e32 v37, 0xff800000                              // 0000000076BC: 7E4A02FF FF800000
	v_cmp_le_i32_e64 s[36:37], v204, v35                       // 0000000076C4: D0C30024 000247CC
	s_nop 0                                                    // 0000000076CC: BF800000
	v_cndmask_b32_e64 v60, v37, v60, s[36:37]                  // 0000000076D0: D100003C 00927925
	v_add_u32_e32 v204, 8, v204                                // 0000000076D8: 69999888
	v_cmp_le_i32_e64 s[36:37], v205, v35                       // 0000000076DC: D0C30024 000247CD
	s_nop 0                                                    // 0000000076E4: BF800000
	v_cndmask_b32_e64 v61, v37, v61, s[36:37]                  // 0000000076E8: D100003D 00927B25
	v_add_u32_e32 v205, 8, v205                                // 0000000076F0: 699B9A88
	v_cmp_le_i32_e64 s[36:37], v206, v35                       // 0000000076F4: D0C30024 000247CE
	s_nop 0                                                    // 0000000076FC: BF800000
	v_cndmask_b32_e64 v62, v37, v62, s[36:37]                  // 000000007700: D100003E 00927D25
	v_add_u32_e32 v206, 8, v206                                // 000000007708: 699D9C88
	v_cmp_le_i32_e64 s[36:37], v207, v35                       // 00000000770C: D0C30024 000247CF
	s_nop 0                                                    // 000000007714: BF800000
	v_cndmask_b32_e64 v63, v37, v63, s[36:37]                  // 000000007718: D100003F 00927F25
	v_add_u32_e32 v207, 8, v207                                // 000000007720: 699F9E88
	v_cmp_le_i32_e64 s[36:37], v204, v35                       // 000000007724: D0C30024 000247CC
	s_nop 0                                                    // 00000000772C: BF800000
	v_cndmask_b32_e64 v64, v37, v64, s[36:37]                  // 000000007730: D1000040 00928125
	v_add_u32_e32 v204, 8, v204                                // 000000007738: 69999888
	v_cmp_le_i32_e64 s[36:37], v205, v35                       // 00000000773C: D0C30024 000247CD
	s_nop 0                                                    // 000000007744: BF800000
	v_cndmask_b32_e64 v65, v37, v65, s[36:37]                  // 000000007748: D1000041 00928325
	v_add_u32_e32 v205, 8, v205                                // 000000007750: 699B9A88
	v_cmp_le_i32_e64 s[36:37], v206, v35                       // 000000007754: D0C30024 000247CE
	s_nop 0                                                    // 00000000775C: BF800000
	v_cndmask_b32_e64 v66, v37, v66, s[36:37]                  // 000000007760: D1000042 00928525
	v_add_u32_e32 v206, 8, v206                                // 000000007768: 699D9C88
	v_cmp_le_i32_e64 s[36:37], v207, v35                       // 00000000776C: D0C30024 000247CF
	s_nop 0                                                    // 000000007774: BF800000
	v_cndmask_b32_e64 v67, v37, v67, s[36:37]                  // 000000007778: D1000043 00928725
	v_add_u32_e32 v207, 8, v207                                // 000000007780: 699F9E88
	v_cmp_le_i32_e64 s[36:37], v204, v35                       // 000000007784: D0C30024 000247CC
	s_nop 0                                                    // 00000000778C: BF800000
	v_cndmask_b32_e64 v68, v37, v68, s[36:37]                  // 000000007790: D1000044 00928925
	v_add_u32_e32 v204, 8, v204                                // 000000007798: 69999888
	v_cmp_le_i32_e64 s[36:37], v205, v35                       // 00000000779C: D0C30024 000247CD
	s_nop 0                                                    // 0000000077A4: BF800000
	v_cndmask_b32_e64 v69, v37, v69, s[36:37]                  // 0000000077A8: D1000045 00928B25
	v_add_u32_e32 v205, 8, v205                                // 0000000077B0: 699B9A88
	v_cmp_le_i32_e64 s[36:37], v206, v35                       // 0000000077B4: D0C30024 000247CE
	s_nop 0                                                    // 0000000077BC: BF800000
	v_cndmask_b32_e64 v70, v37, v70, s[36:37]                  // 0000000077C0: D1000046 00928D25
	v_add_u32_e32 v206, 8, v206                                // 0000000077C8: 699D9C88
	v_cmp_le_i32_e64 s[36:37], v207, v35                       // 0000000077CC: D0C30024 000247CF
	s_nop 0                                                    // 0000000077D4: BF800000
	v_cndmask_b32_e64 v71, v37, v71, s[36:37]                  // 0000000077D8: D1000047 00928F25
	v_add_u32_e32 v207, 8, v207                                // 0000000077E0: 699F9E88
	v_cmp_le_i32_e64 s[36:37], v204, v35                       // 0000000077E4: D0C30024 000247CC
	s_nop 0                                                    // 0000000077EC: BF800000
	v_cndmask_b32_e64 v72, v37, v72, s[36:37]                  // 0000000077F0: D1000048 00929125
	v_add_u32_e32 v204, 8, v204                                // 0000000077F8: 69999888
	v_cmp_le_i32_e64 s[36:37], v205, v35                       // 0000000077FC: D0C30024 000247CD
	s_nop 0                                                    // 000000007804: BF800000
	v_cndmask_b32_e64 v73, v37, v73, s[36:37]                  // 000000007808: D1000049 00929325
	v_add_u32_e32 v205, 8, v205                                // 000000007810: 699B9A88
	v_cmp_le_i32_e64 s[36:37], v206, v35                       // 000000007814: D0C30024 000247CE
	s_nop 0                                                    // 00000000781C: BF800000
	v_cndmask_b32_e64 v74, v37, v74, s[36:37]                  // 000000007820: D100004A 00929525
	v_add_u32_e32 v206, 8, v206                                // 000000007828: 699D9C88
	v_cmp_le_i32_e64 s[36:37], v207, v35                       // 00000000782C: D0C30024 000247CF
	s_nop 0                                                    // 000000007834: BF800000
	v_cndmask_b32_e64 v75, v37, v75, s[36:37]                  // 000000007838: D100004B 00929725
	v_add_u32_e32 v207, 8, v207                                // 000000007840: 699F9E88

0000000000007844 <label_5544>:
	s_add_u32 s83, s84, s83                                    // 000000007844: 80535354
	s_nop 2                                                    // 000000007848: BF800002
	v_mov_b32_e32 v213, v60                                    // 00000000784C: 7FAA033C
	v_max3_f32 v213, v60, v61, v213                            // 000000007850: D1D300D5 07567B3C
	v_max3_f32 v213, v62, v63, v213                            // 000000007858: D1D300D5 07567F3E
	v_max3_f32 v213, v64, v65, v213                            // 000000007860: D1D300D5 07568340
	v_max3_f32 v213, v66, v67, v213                            // 000000007868: D1D300D5 07568742
	v_max3_f32 v213, v68, v69, v213                            // 000000007870: D1D300D5 07568B44
	v_max3_f32 v213, v70, v71, v213                            // 000000007878: D1D300D5 07568F46
	v_max3_f32 v213, v72, v73, v213                            // 000000007880: D1D300D5 07569348
	v_max3_f32 v213, v74, v75, v213                            // 000000007888: D1D300D5 0756974A
	v_mov_b32_e32 v35, v213                                    // 000000007890: 7E4603D5
	v_mov_b32_e32 v36, v213                                    // 000000007894: 7E4803D5
	s_nop 1                                                    // 000000007898: BF800001
	v_permlane32_swap_b32_e32 v35, v36                         // 00000000789C: 7E46B524
	v_max3_f32 v213, v35, v36, v213                            // 0000000078A0: D1D300D5 07564923
	ds_write_b32 v41, v213                                     // 0000000078A8: D81A0000 0000D529
	s_waitcnt lgkmcnt(0)                                       // 0000000078B0: BF8CC07F
	s_barrier                                                  // 0000000078B4: BF8A0000
	ds_read_b32 v35, v40                                       // 0000000078B8: D86C0000 23000028
	ds_read_b32 v36, v40 offset:256                            // 0000000078C0: D86C0100 24000028
	s_waitcnt lgkmcnt(0)                                       // 0000000078C8: BF8CC07F
	v_max3_f32 v213, v35, v36, v213                            // 0000000078CC: D1D300D5 07564923
	v_mov_b32_e32 v35, 0xff800000                              // 0000000078D4: 7E4602FF FF800000
	v_cmp_eq_u32_e64 s[36:37], v35, v2                         // 0000000078DC: D0CA0024 00020523
	v_max_f32_e32 v216, v213, v2                               // 0000000078E4: 17B005D5
	v_sub_f32_e32 v21, v2, v216                                // 0000000078E8: 042BB102
	v_cndmask_b32_e64 v21, v21, 0, s[36:37]                    // 0000000078EC: D1000015 00910115
	v_mov_b32_e32 v2, v216                                     // 0000000078F4: 7E0403D8
	v_mul_f32_e32 v212, s5, v216                               // 0000000078F8: 0BA9B005
	v_mul_f32_e32 v21, s5, v21                                 // 0000000078FC: 0A2A2A05
	v_exp_f32_e32 v21, v21                                     // 000000007900: 7E2A4115
	v_fma_f32 v60, v60, s5, -v212                              // 000000007904: D1CB003C 87500B3C
	v_fma_f32 v61, v61, s5, -v212                              // 00000000790C: D1CB003D 87500B3D
	v_fma_f32 v62, v62, s5, -v212                              // 000000007914: D1CB003E 87500B3E
	v_fma_f32 v63, v63, s5, -v212                              // 00000000791C: D1CB003F 87500B3F
	v_fma_f32 v64, v64, s5, -v212                              // 000000007924: D1CB0040 87500B40
	v_fma_f32 v65, v65, s5, -v212                              // 00000000792C: D1CB0041 87500B41
	v_fma_f32 v66, v66, s5, -v212                              // 000000007934: D1CB0042 87500B42
	v_fma_f32 v67, v67, s5, -v212                              // 00000000793C: D1CB0043 87500B43
	v_fma_f32 v68, v68, s5, -v212                              // 000000007944: D1CB0044 87500B44
	v_fma_f32 v69, v69, s5, -v212                              // 00000000794C: D1CB0045 87500B45
	v_fma_f32 v70, v70, s5, -v212                              // 000000007954: D1CB0046 87500B46
	v_fma_f32 v71, v71, s5, -v212                              // 00000000795C: D1CB0047 87500B47
	v_fma_f32 v72, v72, s5, -v212                              // 000000007964: D1CB0048 87500B48
	v_fma_f32 v73, v73, s5, -v212                              // 00000000796C: D1CB0049 87500B49
	v_fma_f32 v74, v74, s5, -v212                              // 000000007974: D1CB004A 87500B4A
	v_fma_f32 v75, v75, s5, -v212                              // 00000000797C: D1CB004B 87500B4B
	v_mov_b32_e32 v35, 0xffc00000                              // 000000007984: 7E4602FF FFC00000
	v_exp_f32_e32 v60, v60                                     // 00000000798C: 7E78413C
	v_exp_f32_e32 v61, v61                                     // 000000007990: 7E7A413D
	v_exp_f32_e32 v62, v62                                     // 000000007994: 7E7C413E
	v_exp_f32_e32 v63, v63                                     // 000000007998: 7E7E413F
	v_exp_f32_e32 v64, v64                                     // 00000000799C: 7E804140
	v_exp_f32_e32 v65, v65                                     // 0000000079A0: 7E824141
	v_exp_f32_e32 v66, v66                                     // 0000000079A4: 7E844142
	v_exp_f32_e32 v67, v67                                     // 0000000079A8: 7E864143
	v_exp_f32_e32 v68, v68                                     // 0000000079AC: 7E884144
	v_exp_f32_e32 v69, v69                                     // 0000000079B0: 7E8A4145
	v_exp_f32_e32 v70, v70                                     // 0000000079B4: 7E8C4146
	v_exp_f32_e32 v71, v71                                     // 0000000079B8: 7E8E4147
	v_exp_f32_e32 v72, v72                                     // 0000000079BC: 7E904148
	v_exp_f32_e32 v73, v73                                     // 0000000079C0: 7E924149
	v_exp_f32_e32 v74, v74                                     // 0000000079C4: 7E94414A
	v_exp_f32_e32 v75, v75                                     // 0000000079C8: 7E96414B
	v_mul_f32_e32 v4, v21, v4                                  // 0000000079CC: 0A080915
	v_mov_b32_e32 v35, v60                                     // 0000000079D0: 7E46033C
	v_add_f32_e32 v35, v61, v35                                // 0000000079D4: 0246473D
	v_add_f32_e32 v35, v62, v35                                // 0000000079D8: 0246473E
	v_add_f32_e32 v35, v63, v35                                // 0000000079DC: 0246473F
	v_add_f32_e32 v35, v64, v35                                // 0000000079E0: 02464740
	v_add_f32_e32 v35, v65, v35                                // 0000000079E4: 02464741
	v_add_f32_e32 v35, v66, v35                                // 0000000079E8: 02464742
	v_add_f32_e32 v35, v67, v35                                // 0000000079EC: 02464743
	v_add_f32_e32 v35, v68, v35                                // 0000000079F0: 02464744
	v_add_f32_e32 v35, v69, v35                                // 0000000079F4: 02464745
	v_add_f32_e32 v35, v70, v35                                // 0000000079F8: 02464746
	v_add_f32_e32 v35, v71, v35                                // 0000000079FC: 02464747
	v_add_f32_e32 v35, v72, v35                                // 000000007A00: 02464748
	v_add_f32_e32 v35, v73, v35                                // 000000007A04: 02464749
	v_add_f32_e32 v35, v74, v35                                // 000000007A08: 0246474A
	v_add_f32_e32 v35, v75, v35                                // 000000007A0C: 0246474B
	v_add_f32_e32 v4, v35, v4                                  // 000000007A10: 02080923
	v_cvt_pk_fp8_f32 v60, v60, v61                             // 000000007A14: D2A2003C 00027B3C
	v_cvt_pk_fp8_f32 v60, v62, v63 op_sel:[0,0,1]              // 000000007A1C: D2A2403C 00027F3E
	v_cvt_pk_fp8_f32 v61, v64, v65                             // 000000007A24: D2A2003D 00028340
	v_cvt_pk_fp8_f32 v61, v66, v67 op_sel:[0,0,1]              // 000000007A2C: D2A2403D 00028742
	v_cvt_pk_fp8_f32 v62, v68, v69                             // 000000007A34: D2A2003E 00028B44
	v_cvt_pk_fp8_f32 v62, v70, v71 op_sel:[0,0,1]              // 000000007A3C: D2A2403E 00028F46
	v_cvt_pk_fp8_f32 v63, v72, v73                             // 000000007A44: D2A2003F 00029348
	v_cvt_pk_fp8_f32 v63, v74, v75 op_sel:[0,0,1]              // 000000007A4C: D2A2403F 0002974A
	ds_write_b128 v43, v[60:63] offset:1024                    // 000000007A54: D9BE0400 00003C2B
	s_waitcnt lgkmcnt(0)                                       // 000000007A5C: BF8CC07F
	s_barrier                                                  // 000000007A60: BF8A0000
	ds_read_b128 v[60:63], v42 offset:1024                     // 000000007A64: D9FE0400 3C00002A
	ds_read_b128 v[64:67], v42 offset:2048                     // 000000007A6C: D9FE0800 4000002A
	s_waitcnt lgkmcnt(0)                                       // 000000007A74: BF8CC07F
	v_permlane32_swap_b32_e32 v60, v62                         // 000000007A78: 7E78B53E
	v_permlane32_swap_b32_e32 v61, v63                         // 000000007A7C: 7E7AB53F
	v_swap_b32 v61, v62                                        // 000000007A80: 7E7AA33E
	v_permlane32_swap_b32_e32 v64, v66                         // 000000007A84: 7E80B542
	v_permlane32_swap_b32_e32 v65, v67                         // 000000007A88: 7E82B543
	v_swap_b32 v65, v66                                        // 000000007A8C: 7E82A342
	ds_read_b64_tr_b8 a[72:73], v17                            // 000000007A90: DBC40000 48000011
	ds_read_b64_tr_b8 a[74:75], v18                            // 000000007A98: DBC40000 4A000012
	ds_read_b64_tr_b8 a[76:77], v17 offset:18432               // 000000007AA0: DBC44800 4C000011
	ds_read_b64_tr_b8 a[78:79], v18 offset:18432               // 000000007AA8: DBC44800 4E000012
	ds_read_b64_tr_b8 a[80:81], v19                            // 000000007AB0: DBC40000 50000013
	ds_read_b64_tr_b8 a[82:83], v20                            // 000000007AB8: DBC40000 52000014
	ds_read_b64_tr_b8 a[84:85], v19 offset:18432               // 000000007AC0: DBC44800 54000013
	ds_read_b64_tr_b8 a[86:87], v20 offset:18432               // 000000007AC8: DBC44800 56000014
	ds_read_b64_tr_b8 a[88:89], v17 offset:1024                // 000000007AD0: DBC40400 58000011
	ds_read_b64_tr_b8 a[90:91], v18 offset:1024                // 000000007AD8: DBC40400 5A000012
	ds_read_b64_tr_b8 a[92:93], v17 offset:19456               // 000000007AE0: DBC44C00 5C000011
	ds_read_b64_tr_b8 a[94:95], v18 offset:19456               // 000000007AE8: DBC44C00 5E000012
	ds_read_b64_tr_b8 a[96:97], v19 offset:1024                // 000000007AF0: DBC40400 60000013
	ds_read_b64_tr_b8 a[98:99], v20 offset:1024                // 000000007AF8: DBC40400 62000014
	ds_read_b64_tr_b8 a[100:101], v19 offset:19456             // 000000007B00: DBC44C00 64000013
	ds_read_b64_tr_b8 a[102:103], v20 offset:19456             // 000000007B08: DBC44C00 66000014
	ds_read_b64_tr_b8 a[104:105], v17 offset:2048              // 000000007B10: DBC40800 68000011
	ds_read_b64_tr_b8 a[106:107], v18 offset:2048              // 000000007B18: DBC40800 6A000012
	ds_read_b64_tr_b8 a[108:109], v17 offset:20480             // 000000007B20: DBC45000 6C000011
	ds_read_b64_tr_b8 a[110:111], v18 offset:20480             // 000000007B28: DBC45000 6E000012
	ds_read_b64_tr_b8 a[112:113], v19 offset:2048              // 000000007B30: DBC40800 70000013
	ds_read_b64_tr_b8 a[114:115], v20 offset:2048              // 000000007B38: DBC40800 72000014
	ds_read_b64_tr_b8 a[116:117], v19 offset:20480             // 000000007B40: DBC45000 74000013
	ds_read_b64_tr_b8 a[118:119], v20 offset:20480             // 000000007B48: DBC45000 76000014
	ds_read_b64_tr_b8 a[120:121], v17 offset:3072              // 000000007B50: DBC40C00 78000011
	ds_read_b64_tr_b8 a[122:123], v18 offset:3072              // 000000007B58: DBC40C00 7A000012
	ds_read_b64_tr_b8 a[124:125], v17 offset:21504             // 000000007B60: DBC45400 7C000011
	ds_read_b64_tr_b8 a[126:127], v18 offset:21504             // 000000007B68: DBC45400 7E000012
	ds_read_b64_tr_b8 a[128:129], v19 offset:3072              // 000000007B70: DBC40C00 80000013
	ds_read_b64_tr_b8 a[130:131], v20 offset:3072              // 000000007B78: DBC40C00 82000014
	ds_read_b64_tr_b8 a[132:133], v19 offset:21504             // 000000007B80: DBC45400 84000013
	ds_read_b64_tr_b8 a[134:135], v20 offset:21504             // 000000007B88: DBC45400 86000014
	s_waitcnt lgkmcnt(4)                                       // 000000007B90: BF8CC47F
	v_mfma_f32_32x32x64_f8f6f4 v[76:91], a[72:79], v[44:51], v[76:91]// 000000007B94: D3AE004C 0D325948
	ds_read_b64_tr_b8 a[72:73], v5                             // 000000007B9C: DBC40000 48000005
	ds_read_b64_tr_b8 a[74:75], v6                             // 000000007BA4: DBC40000 4A000006
	ds_read_b64_tr_b8 a[76:77], v5 offset:18432                // 000000007BAC: DBC44800 4C000005
	ds_read_b64_tr_b8 a[78:79], v6 offset:18432                // 000000007BB4: DBC44800 4E000006
	v_mfma_f32_32x32x64_f8f6f4 v[92:107], a[80:87], v[44:51], v[92:107]// 000000007BBC: D3AE005C 0D725950
	ds_read_b64_tr_b8 a[80:81], v7                             // 000000007BC4: DBC40000 50000007
	ds_read_b64_tr_b8 a[82:83], v8                             // 000000007BCC: DBC40000 52000008
	ds_read_b64_tr_b8 a[84:85], v7 offset:18432                // 000000007BD4: DBC44800 54000007
	ds_read_b64_tr_b8 a[86:87], v8 offset:18432                // 000000007BDC: DBC44800 56000008
	v_mfma_f32_32x32x64_f8f6f4 v[108:123], a[88:95], v[44:51], v[108:123]// 000000007BE4: D3AE006C 0DB25958
	ds_read_b64_tr_b8 a[88:89], v5 offset:1024                 // 000000007BEC: DBC40400 58000005
	ds_read_b64_tr_b8 a[90:91], v6 offset:1024                 // 000000007BF4: DBC40400 5A000006
	ds_read_b64_tr_b8 a[92:93], v5 offset:19456                // 000000007BFC: DBC44C00 5C000005
	ds_read_b64_tr_b8 a[94:95], v6 offset:19456                // 000000007C04: DBC44C00 5E000006
	v_mfma_f32_32x32x64_f8f6f4 v[124:139], a[96:103], v[44:51], v[124:139]// 000000007C0C: D3AE007C 0DF25960
	ds_read_b64_tr_b8 a[96:97], v7 offset:1024                 // 000000007C14: DBC40400 60000007
	ds_read_b64_tr_b8 a[98:99], v8 offset:1024                 // 000000007C1C: DBC40400 62000008
	ds_read_b64_tr_b8 a[100:101], v7 offset:19456              // 000000007C24: DBC44C00 64000007
	ds_read_b64_tr_b8 a[102:103], v8 offset:19456              // 000000007C2C: DBC44C00 66000008
	v_mfma_f32_32x32x64_f8f6f4 v[140:155], a[104:111], v[44:51], v[140:155]// 000000007C34: D3AE008C 0E325968
	ds_read_b64_tr_b8 a[104:105], v5 offset:2048               // 000000007C3C: DBC40800 68000005
	ds_read_b64_tr_b8 a[106:107], v6 offset:2048               // 000000007C44: DBC40800 6A000006
	ds_read_b64_tr_b8 a[108:109], v5 offset:20480              // 000000007C4C: DBC45000 6C000005
	ds_read_b64_tr_b8 a[110:111], v6 offset:20480              // 000000007C54: DBC45000 6E000006
	v_mfma_f32_32x32x64_f8f6f4 v[156:171], a[112:119], v[44:51], v[156:171]// 000000007C5C: D3AE009C 0E725970
	ds_read_b64_tr_b8 a[112:113], v7 offset:2048               // 000000007C64: DBC40800 70000007
	ds_read_b64_tr_b8 a[114:115], v8 offset:2048               // 000000007C6C: DBC40800 72000008
	ds_read_b64_tr_b8 a[116:117], v7 offset:20480              // 000000007C74: DBC45000 74000007
	ds_read_b64_tr_b8 a[118:119], v8 offset:20480              // 000000007C7C: DBC45000 76000008
	v_mfma_f32_32x32x64_f8f6f4 v[172:187], a[120:127], v[44:51], v[172:187]// 000000007C84: D3AE00AC 0EB25978
	ds_read_b64_tr_b8 a[120:121], v5 offset:3072               // 000000007C8C: DBC40C00 78000005
	ds_read_b64_tr_b8 a[122:123], v6 offset:3072               // 000000007C94: DBC40C00 7A000006
	ds_read_b64_tr_b8 a[124:125], v5 offset:21504              // 000000007C9C: DBC45400 7C000005
	ds_read_b64_tr_b8 a[126:127], v6 offset:21504              // 000000007CA4: DBC45400 7E000006
	v_mfma_f32_32x32x64_f8f6f4 v[188:203], a[128:135], v[44:51], v[188:203]// 000000007CAC: D3AE00BC 0EF25980
	ds_read_b64_tr_b8 a[128:129], v7 offset:3072               // 000000007CB4: DBC40C00 80000007
	ds_read_b64_tr_b8 a[130:131], v8 offset:3072               // 000000007CBC: DBC40C00 82000008
	ds_read_b64_tr_b8 a[132:133], v7 offset:21504              // 000000007CC4: DBC45400 84000007
	ds_read_b64_tr_b8 a[134:135], v8 offset:21504              // 000000007CCC: DBC45400 86000008
	v_mov_b32_e32 v36, v21                                     // 000000007CD4: 7E480315
	v_mov_b32_e32 v37, v21                                     // 000000007CD8: 7E4A0315
	v_pk_mul_f32 v[76:77], v[36:37], v[76:77]                  // 000000007CDC: D3B1404C 18029924
	v_pk_mul_f32 v[78:79], v[36:37], v[78:79]                  // 000000007CE4: D3B1404E 18029D24
	v_pk_mul_f32 v[80:81], v[36:37], v[80:81]                  // 000000007CEC: D3B14050 1802A124
	v_pk_mul_f32 v[82:83], v[36:37], v[82:83]                  // 000000007CF4: D3B14052 1802A524
	v_pk_mul_f32 v[84:85], v[36:37], v[84:85]                  // 000000007CFC: D3B14054 1802A924
	v_pk_mul_f32 v[86:87], v[36:37], v[86:87]                  // 000000007D04: D3B14056 1802AD24
	v_pk_mul_f32 v[88:89], v[36:37], v[88:89]                  // 000000007D0C: D3B14058 1802B124
	v_pk_mul_f32 v[90:91], v[36:37], v[90:91]                  // 000000007D14: D3B1405A 1802B524
	v_pk_mul_f32 v[92:93], v[36:37], v[92:93]                  // 000000007D1C: D3B1405C 1802B924
	v_pk_mul_f32 v[94:95], v[36:37], v[94:95]                  // 000000007D24: D3B1405E 1802BD24
	v_pk_mul_f32 v[96:97], v[36:37], v[96:97]                  // 000000007D2C: D3B14060 1802C124
	v_pk_mul_f32 v[98:99], v[36:37], v[98:99]                  // 000000007D34: D3B14062 1802C524
	v_pk_mul_f32 v[100:101], v[36:37], v[100:101]              // 000000007D3C: D3B14064 1802C924
	v_pk_mul_f32 v[102:103], v[36:37], v[102:103]              // 000000007D44: D3B14066 1802CD24
	v_pk_mul_f32 v[104:105], v[36:37], v[104:105]              // 000000007D4C: D3B14068 1802D124
	v_pk_mul_f32 v[106:107], v[36:37], v[106:107]              // 000000007D54: D3B1406A 1802D524
	v_pk_mul_f32 v[108:109], v[36:37], v[108:109]              // 000000007D5C: D3B1406C 1802D924
	v_pk_mul_f32 v[110:111], v[36:37], v[110:111]              // 000000007D64: D3B1406E 1802DD24
	v_pk_mul_f32 v[112:113], v[36:37], v[112:113]              // 000000007D6C: D3B14070 1802E124
	v_pk_mul_f32 v[114:115], v[36:37], v[114:115]              // 000000007D74: D3B14072 1802E524
	v_pk_mul_f32 v[116:117], v[36:37], v[116:117]              // 000000007D7C: D3B14074 1802E924
	v_pk_mul_f32 v[118:119], v[36:37], v[118:119]              // 000000007D84: D3B14076 1802ED24
	v_pk_mul_f32 v[120:121], v[36:37], v[120:121]              // 000000007D8C: D3B14078 1802F124
	v_pk_mul_f32 v[122:123], v[36:37], v[122:123]              // 000000007D94: D3B1407A 1802F524
	v_pk_mul_f32 v[124:125], v[36:37], v[124:125]              // 000000007D9C: D3B1407C 1802F924
	v_pk_mul_f32 v[126:127], v[36:37], v[126:127]              // 000000007DA4: D3B1407E 1802FD24
	v_pk_mul_f32 v[128:129], v[36:37], v[128:129]              // 000000007DAC: D3B14080 18030124
	v_pk_mul_f32 v[130:131], v[36:37], v[130:131]              // 000000007DB4: D3B14082 18030524
	v_pk_mul_f32 v[132:133], v[36:37], v[132:133]              // 000000007DBC: D3B14084 18030924
	v_pk_mul_f32 v[134:135], v[36:37], v[134:135]              // 000000007DC4: D3B14086 18030D24
	v_pk_mul_f32 v[136:137], v[36:37], v[136:137]              // 000000007DCC: D3B14088 18031124
	v_pk_mul_f32 v[138:139], v[36:37], v[138:139]              // 000000007DD4: D3B1408A 18031524
	v_pk_mul_f32 v[140:141], v[36:37], v[140:141]              // 000000007DDC: D3B1408C 18031924
	v_pk_mul_f32 v[142:143], v[36:37], v[142:143]              // 000000007DE4: D3B1408E 18031D24
	v_pk_mul_f32 v[144:145], v[36:37], v[144:145]              // 000000007DEC: D3B14090 18032124
	v_pk_mul_f32 v[146:147], v[36:37], v[146:147]              // 000000007DF4: D3B14092 18032524
	v_pk_mul_f32 v[148:149], v[36:37], v[148:149]              // 000000007DFC: D3B14094 18032924
	v_pk_mul_f32 v[150:151], v[36:37], v[150:151]              // 000000007E04: D3B14096 18032D24
	v_pk_mul_f32 v[152:153], v[36:37], v[152:153]              // 000000007E0C: D3B14098 18033124
	v_pk_mul_f32 v[154:155], v[36:37], v[154:155]              // 000000007E14: D3B1409A 18033524
	v_pk_mul_f32 v[156:157], v[36:37], v[156:157]              // 000000007E1C: D3B1409C 18033924
	v_pk_mul_f32 v[158:159], v[36:37], v[158:159]              // 000000007E24: D3B1409E 18033D24
	v_pk_mul_f32 v[160:161], v[36:37], v[160:161]              // 000000007E2C: D3B140A0 18034124
	v_pk_mul_f32 v[162:163], v[36:37], v[162:163]              // 000000007E34: D3B140A2 18034524
	v_pk_mul_f32 v[164:165], v[36:37], v[164:165]              // 000000007E3C: D3B140A4 18034924
	v_pk_mul_f32 v[166:167], v[36:37], v[166:167]              // 000000007E44: D3B140A6 18034D24
	v_pk_mul_f32 v[168:169], v[36:37], v[168:169]              // 000000007E4C: D3B140A8 18035124
	v_pk_mul_f32 v[170:171], v[36:37], v[170:171]              // 000000007E54: D3B140AA 18035524
	v_pk_mul_f32 v[172:173], v[36:37], v[172:173]              // 000000007E5C: D3B140AC 18035924
	v_pk_mul_f32 v[174:175], v[36:37], v[174:175]              // 000000007E64: D3B140AE 18035D24
	v_pk_mul_f32 v[176:177], v[36:37], v[176:177]              // 000000007E6C: D3B140B0 18036124
	v_pk_mul_f32 v[178:179], v[36:37], v[178:179]              // 000000007E74: D3B140B2 18036524
	v_pk_mul_f32 v[180:181], v[36:37], v[180:181]              // 000000007E7C: D3B140B4 18036924
	v_pk_mul_f32 v[182:183], v[36:37], v[182:183]              // 000000007E84: D3B140B6 18036D24
	v_pk_mul_f32 v[184:185], v[36:37], v[184:185]              // 000000007E8C: D3B140B8 18037124
	v_pk_mul_f32 v[186:187], v[36:37], v[186:187]              // 000000007E94: D3B140BA 18037524
	v_pk_mul_f32 v[188:189], v[36:37], v[188:189]              // 000000007E9C: D3B140BC 18037924
	v_pk_mul_f32 v[190:191], v[36:37], v[190:191]              // 000000007EA4: D3B140BE 18037D24
	v_pk_mul_f32 v[192:193], v[36:37], v[192:193]              // 000000007EAC: D3B140C0 18038124
	v_pk_mul_f32 v[194:195], v[36:37], v[194:195]              // 000000007EB4: D3B140C2 18038524
	v_pk_mul_f32 v[196:197], v[36:37], v[196:197]              // 000000007EBC: D3B140C4 18038924
	v_pk_mul_f32 v[198:199], v[36:37], v[198:199]              // 000000007EC4: D3B140C6 18038D24
	v_pk_mul_f32 v[200:201], v[36:37], v[200:201]              // 000000007ECC: D3B140C8 18039124
	v_pk_mul_f32 v[202:203], v[36:37], v[202:203]              // 000000007ED4: D3B140CA 18039524
	s_waitcnt vmcnt(0)                                         // 000000007EDC: BF8C0F70
	s_barrier                                                  // 000000007EE0: BF8A0000
	v_mfma_f32_32x32x64_f8f6f4 v[76:91], a[72:79], v[60:67], v[76:91]// 000000007EE4: D3AE004C 0D327948
	ds_read_b128 a[72:75], v24                                 // 000000007EEC: DBFE0000 48000018
	ds_read_b128 a[76:79], v25                                 // 000000007EF4: DBFE0000 4C000019
	v_mfma_f32_32x32x64_f8f6f4 v[92:107], a[80:87], v[60:67], v[92:107]// 000000007EFC: D3AE005C 0D727950
	ds_read_b128 a[80:83], v24 offset:1024                     // 000000007F04: DBFE0400 50000018
	ds_read_b128 a[84:87], v25 offset:1024                     // 000000007F0C: DBFE0400 54000019
	v_mfma_f32_32x32x64_f8f6f4 v[108:123], a[88:95], v[60:67], v[108:123]// 000000007F14: D3AE006C 0DB27958
	ds_read_b128 a[88:91], v24 offset:2048                     // 000000007F1C: DBFE0800 58000018
	ds_read_b128 a[92:95], v25 offset:2048                     // 000000007F24: DBFE0800 5C000019
	v_mfma_f32_32x32x64_f8f6f4 v[124:139], a[96:103], v[60:67], v[124:139]// 000000007F2C: D3AE007C 0DF27960
	ds_read_b128 a[96:99], v24 offset:3072                     // 000000007F34: DBFE0C00 60000018
	ds_read_b128 a[100:103], v25 offset:3072                   // 000000007F3C: DBFE0C00 64000019
	v_mfma_f32_32x32x64_f8f6f4 v[140:155], a[104:111], v[60:67], v[140:155]// 000000007F44: D3AE008C 0E327968
	ds_read_b128 a[104:107], v24 offset:4096                   // 000000007F4C: DBFE1000 68000018
	ds_read_b128 a[108:111], v25 offset:4096                   // 000000007F54: DBFE1000 6C000019
	v_mfma_f32_32x32x64_f8f6f4 v[156:171], a[112:119], v[60:67], v[156:171]// 000000007F5C: D3AE009C 0E727970
	ds_read_b128 a[112:115], v24 offset:5120                   // 000000007F64: DBFE1400 70000018
	ds_read_b128 a[116:119], v25 offset:5120                   // 000000007F6C: DBFE1400 74000019
	v_mfma_f32_32x32x64_f8f6f4 v[172:187], a[120:127], v[60:67], v[172:187]// 000000007F74: D3AE00AC 0EB27978
	ds_read_b128 a[120:123], v24 offset:6144                   // 000000007F7C: DBFE1800 78000018
	ds_read_b128 a[124:127], v25 offset:6144                   // 000000007F84: DBFE1800 7C000019
	v_mfma_f32_32x32x64_f8f6f4 v[188:203], a[128:135], v[60:67], v[188:203]// 000000007F8C: D3AE00BC 0EF27980
	ds_read_b128 a[128:131], v24 offset:7168                   // 000000007F94: DBFE1C00 80000018
	ds_read_b128 a[132:135], v25 offset:7168                   // 000000007F9C: DBFE1C00 84000019
	ds_read_b128 a[136:139], v24 offset:8192                   // 000000007FA4: DBFE2000 88000018
	ds_read_b128 a[140:143], v25 offset:8192                   // 000000007FAC: DBFE2000 8C000019
	s_branch label_5CB8                                        // 000000007FB4: BF820000

0000000000007fb8 <label_5CB8>:
	s_cmp_eq_i32 s48, 0                                        // 000000007FB8: BF008030
	s_cbranch_scc1 label_82A4                                  // 000000007FBC: BF850979

0000000000007fc0 <label_5CC0>:
	s_and_b32 s56, 3, s71                                      // 000000007FC0: 86384783
	s_cmp_eq_i32 s56, 1                                        // 000000007FC4: BF008138
	s_cbranch_scc1 label_5CE4                                  // 000000007FC8: BF850006
	s_cmp_eq_i32 s56, 2                                        // 000000007FCC: BF008238
	s_cbranch_scc1 label_6654                                  // 000000007FD0: BF850260
	s_cmp_eq_i32 s56, 3                                        // 000000007FD4: BF008338
	s_cbranch_scc1 label_6FC4                                  // 000000007FD8: BF8504BA
	s_cmp_eq_i32 s56, 0                                        // 000000007FDC: BF008038
	s_cbranch_scc1 label_7934                                  // 000000007FE0: BF850714

0000000000007fe4 <label_5CE4>:
	s_waitcnt lgkmcnt(4)                                       // 000000007FE4: BF8CC47F
	v_mfma_f32_32x32x64_f8f6f4 v[60:75], a[72:79], a[0:7], 0   // 000000007FE8: D3AE003C 1A020148
	v_mfma_f32_32x32x64_f8f6f4 v[60:75], a[80:87], a[8:15], v[60:75]// 000000007FF0: D3AE003C 1CF21150
	v_mfma_f32_32x32x64_f8f6f4 v[60:75], a[88:95], a[16:23], v[60:75]// 000000007FF8: D3AE003C 1CF22158
	ds_read_b64_tr_b8 a[72:73], v13                            // 000000008000: DBC40000 4800000D
	ds_read_b64_tr_b8 a[74:75], v14                            // 000000008008: DBC40000 4A00000E
	ds_read_b64_tr_b8 a[76:77], v13 offset:18432               // 000000008010: DBC44800 4C00000D
	ds_read_b64_tr_b8 a[78:79], v14 offset:18432               // 000000008018: DBC44800 4E00000E
	v_mfma_f32_32x32x64_f8f6f4 v[60:75], a[96:103], a[24:31], v[60:75]// 000000008020: D3AE003C 1CF23160
	ds_read_b64_tr_b8 a[80:81], v15                            // 000000008028: DBC40000 5000000F
	ds_read_b64_tr_b8 a[82:83], v16                            // 000000008030: DBC40000 52000010
	ds_read_b64_tr_b8 a[84:85], v15 offset:18432               // 000000008038: DBC44800 5400000F
	ds_read_b64_tr_b8 a[86:87], v16 offset:18432               // 000000008040: DBC44800 56000010
	v_mfma_f32_32x32x64_f8f6f4 v[60:75], a[104:111], a[32:39], v[60:75]// 000000008048: D3AE003C 1CF24168
	ds_read_b64_tr_b8 a[88:89], v13 offset:1024                // 000000008050: DBC40400 5800000D
	ds_read_b64_tr_b8 a[90:91], v14 offset:1024                // 000000008058: DBC40400 5A00000E
	ds_read_b64_tr_b8 a[92:93], v13 offset:19456               // 000000008060: DBC44C00 5C00000D
	ds_read_b64_tr_b8 a[94:95], v14 offset:19456               // 000000008068: DBC44C00 5E00000E
	v_mfma_f32_32x32x64_f8f6f4 v[60:75], a[112:119], a[40:47], v[60:75]// 000000008070: D3AE003C 1CF25170
	ds_read_b64_tr_b8 a[96:97], v15 offset:1024                // 000000008078: DBC40400 6000000F
	ds_read_b64_tr_b8 a[98:99], v16 offset:1024                // 000000008080: DBC40400 62000010
	ds_read_b64_tr_b8 a[100:101], v15 offset:19456             // 000000008088: DBC44C00 6400000F
	ds_read_b64_tr_b8 a[102:103], v16 offset:19456             // 000000008090: DBC44C00 66000010
	v_mfma_f32_32x32x64_f8f6f4 v[60:75], a[120:127], a[48:55], v[60:75]// 000000008098: D3AE003C 1CF26178
	ds_read_b64_tr_b8 a[104:105], v13 offset:2048              // 0000000080A0: DBC40800 6800000D
	ds_read_b64_tr_b8 a[106:107], v14 offset:2048              // 0000000080A8: DBC40800 6A00000E
	ds_read_b64_tr_b8 a[108:109], v13 offset:20480             // 0000000080B0: DBC45000 6C00000D
	ds_read_b64_tr_b8 a[110:111], v14 offset:20480             // 0000000080B8: DBC45000 6E00000E
	v_mfma_f32_32x32x64_f8f6f4 v[60:75], a[128:135], a[56:63], v[60:75]// 0000000080C0: D3AE003C 1CF27180
	ds_read_b64_tr_b8 a[112:113], v15 offset:2048              // 0000000080C8: DBC40800 7000000F
	ds_read_b64_tr_b8 a[114:115], v16 offset:2048              // 0000000080D0: DBC40800 72000010
	ds_read_b64_tr_b8 a[116:117], v15 offset:20480             // 0000000080D8: DBC45000 7400000F
	ds_read_b64_tr_b8 a[118:119], v16 offset:20480             // 0000000080E0: DBC45000 76000010
	v_mfma_f32_32x32x64_f8f6f4 v[60:75], a[136:143], a[64:71], v[60:75]// 0000000080E8: D3AE003C 1CF28188
	ds_read_b64_tr_b8 a[120:121], v13 offset:3072              // 0000000080F0: DBC40C00 7800000D
	ds_read_b64_tr_b8 a[122:123], v14 offset:3072              // 0000000080F8: DBC40C00 7A00000E
	ds_read_b64_tr_b8 a[124:125], v13 offset:21504             // 000000008100: DBC45400 7C00000D
	ds_read_b64_tr_b8 a[126:127], v14 offset:21504             // 000000008108: DBC45400 7E00000E
	ds_read_b64_tr_b8 a[128:129], v15 offset:3072              // 000000008110: DBC40C00 8000000F
	ds_read_b64_tr_b8 a[130:131], v16 offset:3072              // 000000008118: DBC40C00 82000010
	ds_read_b64_tr_b8 a[132:133], v15 offset:21504             // 000000008120: DBC45400 8400000F
	ds_read_b64_tr_b8 a[134:135], v16 offset:21504             // 000000008128: DBC45400 86000010
	s_cmp_le_i32 s83, s82                                      // 000000008130: BF055253
	s_cbranch_scc1 label_6004                                  // 000000008134: BF850073
	v_and_b32_e32 v35, 31, v0                                  // 000000008138: 2646009F
	v_lshrrev_b32_e32 v35, 3, v35                              // 00000000813C: 20464683
	v_add_u32_e32 v35, s82, v35                                // 000000008140: 68464652
	s_and_b32 s56, 2, s7                                       // 000000008144: 86380782
	s_lshl_b32 s56, s56, 1                                     // 000000008148: 8E388138
	v_add_u32_e32 v35, s56, v35                                // 00000000814C: 68464638
	s_sub_u32 s56, s83, 64                                     // 000000008150: 80B8C053
	v_lshrrev_b32_e32 v204, 5, v0                              // 000000008154: 21980085
	v_mul_i32_i24_e32 v204, 4, v204                            // 000000008158: 0D999884
	v_add_u32_e32 v204, s56, v204                              // 00000000815C: 69999838
	s_and_b32 s56, s7, 1                                       // 000000008160: 86388107
	s_mov_b32 s57, 32                                          // 000000008164: BEB900A0
	s_mul_i32 s56, s57, s56                                    // 000000008168: 92383839
	v_add_u32_e32 v204, s56, v204                              // 00000000816C: 69999838
	v_add_u32_e32 v205, 1, v204                                // 000000008170: 699B9881
	v_add_u32_e32 v206, 2, v204                                // 000000008174: 699D9882
	v_add_u32_e32 v207, 3, v204                                // 000000008178: 699F9883
	v_mov_b32_e32 v37, 0xff800000                              // 00000000817C: 7E4A02FF FF800000
	v_cmp_le_i32_e64 s[36:37], v204, v35                       // 000000008184: D0C30024 000247CC
	s_nop 0                                                    // 00000000818C: BF800000
	v_cndmask_b32_e64 v60, v37, v60, s[36:37]                  // 000000008190: D100003C 00927925
	v_add_u32_e32 v204, 8, v204                                // 000000008198: 69999888
	v_cmp_le_i32_e64 s[36:37], v205, v35                       // 00000000819C: D0C30024 000247CD
	s_nop 0                                                    // 0000000081A4: BF800000
	v_cndmask_b32_e64 v61, v37, v61, s[36:37]                  // 0000000081A8: D100003D 00927B25
	v_add_u32_e32 v205, 8, v205                                // 0000000081B0: 699B9A88
	v_cmp_le_i32_e64 s[36:37], v206, v35                       // 0000000081B4: D0C30024 000247CE
	s_nop 0                                                    // 0000000081BC: BF800000
	v_cndmask_b32_e64 v62, v37, v62, s[36:37]                  // 0000000081C0: D100003E 00927D25
	v_add_u32_e32 v206, 8, v206                                // 0000000081C8: 699D9C88
	v_cmp_le_i32_e64 s[36:37], v207, v35                       // 0000000081CC: D0C30024 000247CF
	s_nop 0                                                    // 0000000081D4: BF800000
	v_cndmask_b32_e64 v63, v37, v63, s[36:37]                  // 0000000081D8: D100003F 00927F25
	v_add_u32_e32 v207, 8, v207                                // 0000000081E0: 699F9E88
	v_cmp_le_i32_e64 s[36:37], v204, v35                       // 0000000081E4: D0C30024 000247CC
	s_nop 0                                                    // 0000000081EC: BF800000
	v_cndmask_b32_e64 v64, v37, v64, s[36:37]                  // 0000000081F0: D1000040 00928125
	v_add_u32_e32 v204, 8, v204                                // 0000000081F8: 69999888
	v_cmp_le_i32_e64 s[36:37], v205, v35                       // 0000000081FC: D0C30024 000247CD
	s_nop 0                                                    // 000000008204: BF800000
	v_cndmask_b32_e64 v65, v37, v65, s[36:37]                  // 000000008208: D1000041 00928325
	v_add_u32_e32 v205, 8, v205                                // 000000008210: 699B9A88
	v_cmp_le_i32_e64 s[36:37], v206, v35                       // 000000008214: D0C30024 000247CE
	s_nop 0                                                    // 00000000821C: BF800000
	v_cndmask_b32_e64 v66, v37, v66, s[36:37]                  // 000000008220: D1000042 00928525
	v_add_u32_e32 v206, 8, v206                                // 000000008228: 699D9C88
	v_cmp_le_i32_e64 s[36:37], v207, v35                       // 00000000822C: D0C30024 000247CF
	s_nop 0                                                    // 000000008234: BF800000
	v_cndmask_b32_e64 v67, v37, v67, s[36:37]                  // 000000008238: D1000043 00928725
	v_add_u32_e32 v207, 8, v207                                // 000000008240: 699F9E88
	v_cmp_le_i32_e64 s[36:37], v204, v35                       // 000000008244: D0C30024 000247CC
	s_nop 0                                                    // 00000000824C: BF800000
	v_cndmask_b32_e64 v68, v37, v68, s[36:37]                  // 000000008250: D1000044 00928925
	v_add_u32_e32 v204, 8, v204                                // 000000008258: 69999888
	v_cmp_le_i32_e64 s[36:37], v205, v35                       // 00000000825C: D0C30024 000247CD
	s_nop 0                                                    // 000000008264: BF800000
	v_cndmask_b32_e64 v69, v37, v69, s[36:37]                  // 000000008268: D1000045 00928B25
	v_add_u32_e32 v205, 8, v205                                // 000000008270: 699B9A88
	v_cmp_le_i32_e64 s[36:37], v206, v35                       // 000000008274: D0C30024 000247CE
	s_nop 0                                                    // 00000000827C: BF800000
	v_cndmask_b32_e64 v70, v37, v70, s[36:37]                  // 000000008280: D1000046 00928D25
	v_add_u32_e32 v206, 8, v206                                // 000000008288: 699D9C88
	v_cmp_le_i32_e64 s[36:37], v207, v35                       // 00000000828C: D0C30024 000247CF
	s_nop 0                                                    // 000000008294: BF800000
	v_cndmask_b32_e64 v71, v37, v71, s[36:37]                  // 000000008298: D1000047 00928F25
	v_add_u32_e32 v207, 8, v207                                // 0000000082A0: 699F9E88
	v_cmp_le_i32_e64 s[36:37], v204, v35                       // 0000000082A4: D0C30024 000247CC
	s_nop 0                                                    // 0000000082AC: BF800000
	v_cndmask_b32_e64 v72, v37, v72, s[36:37]                  // 0000000082B0: D1000048 00929125
	v_add_u32_e32 v204, 8, v204                                // 0000000082B8: 69999888
	v_cmp_le_i32_e64 s[36:37], v205, v35                       // 0000000082BC: D0C30024 000247CD
	s_nop 0                                                    // 0000000082C4: BF800000
	v_cndmask_b32_e64 v73, v37, v73, s[36:37]                  // 0000000082C8: D1000049 00929325
	v_add_u32_e32 v205, 8, v205                                // 0000000082D0: 699B9A88
	v_cmp_le_i32_e64 s[36:37], v206, v35                       // 0000000082D4: D0C30024 000247CE
	s_nop 0                                                    // 0000000082DC: BF800000
	v_cndmask_b32_e64 v74, v37, v74, s[36:37]                  // 0000000082E0: D100004A 00929525
	v_add_u32_e32 v206, 8, v206                                // 0000000082E8: 699D9C88
	v_cmp_le_i32_e64 s[36:37], v207, v35                       // 0000000082EC: D0C30024 000247CF
	s_nop 0                                                    // 0000000082F4: BF800000
	v_cndmask_b32_e64 v75, v37, v75, s[36:37]                  // 0000000082F8: D100004B 00929725
	v_add_u32_e32 v207, 8, v207                                // 000000008300: 699F9E88

0000000000008304 <label_6004>:
	s_and_b32 s56, s48, 0xff                                   // 000000008304: 8638FF30 000000FF
	v_mov_b32_e32 v36, s56                                     // 00000000830C: 7E480238
	v_lshrrev_b32_e32 v204, 5, v0                              // 000000008310: 21980085
	v_mul_i32_i24_e32 v204, 4, v204                            // 000000008314: 0D999884
	s_and_b32 s56, s7, 1                                       // 000000008318: 86388107
	s_mov_b32 s57, 32                                          // 00000000831C: BEB900A0
	s_mul_i32 s56, s57, s56                                    // 000000008320: 92383839
	v_add_u32_e32 v204, s56, v204                              // 000000008324: 69999838
	v_add_u32_e32 v205, 1, v204                                // 000000008328: 699B9881
	v_add_u32_e32 v206, 2, v204                                // 00000000832C: 699D9882
	v_add_u32_e32 v207, 3, v204                                // 000000008330: 699F9883
	v_mov_b32_e32 v35, 0xff800000                              // 000000008334: 7E4602FF FF800000
	v_cmp_lt_u32_e64 s[36:37], v204, v36                       // 00000000833C: D0C90024 000249CC
	v_add_u32_e32 v204, 8, v204                                // 000000008344: 69999888
	s_nop 0                                                    // 000000008348: BF800000
	v_cndmask_b32_e64 v60, v35, v60, s[36:37]                  // 00000000834C: D100003C 00927923
	v_cmp_lt_u32_e64 s[36:37], v205, v36                       // 000000008354: D0C90024 000249CD
	v_add_u32_e32 v205, 8, v205                                // 00000000835C: 699B9A88
	s_nop 0                                                    // 000000008360: BF800000
	v_cndmask_b32_e64 v61, v35, v61, s[36:37]                  // 000000008364: D100003D 00927B23
	v_cmp_lt_u32_e64 s[36:37], v206, v36                       // 00000000836C: D0C90024 000249CE
	v_add_u32_e32 v206, 8, v206                                // 000000008374: 699D9C88
	s_nop 0                                                    // 000000008378: BF800000
	v_cndmask_b32_e64 v62, v35, v62, s[36:37]                  // 00000000837C: D100003E 00927D23
	v_cmp_lt_u32_e64 s[36:37], v207, v36                       // 000000008384: D0C90024 000249CF
	v_add_u32_e32 v207, 8, v207                                // 00000000838C: 699F9E88
	s_nop 0                                                    // 000000008390: BF800000
	v_cndmask_b32_e64 v63, v35, v63, s[36:37]                  // 000000008394: D100003F 00927F23
	v_cmp_lt_u32_e64 s[36:37], v204, v36                       // 00000000839C: D0C90024 000249CC
	v_add_u32_e32 v204, 8, v204                                // 0000000083A4: 69999888
	s_nop 0                                                    // 0000000083A8: BF800000
	v_cndmask_b32_e64 v64, v35, v64, s[36:37]                  // 0000000083AC: D1000040 00928123
	v_cmp_lt_u32_e64 s[36:37], v205, v36                       // 0000000083B4: D0C90024 000249CD
	v_add_u32_e32 v205, 8, v205                                // 0000000083BC: 699B9A88
	s_nop 0                                                    // 0000000083C0: BF800000
	v_cndmask_b32_e64 v65, v35, v65, s[36:37]                  // 0000000083C4: D1000041 00928323
	v_cmp_lt_u32_e64 s[36:37], v206, v36                       // 0000000083CC: D0C90024 000249CE
	v_add_u32_e32 v206, 8, v206                                // 0000000083D4: 699D9C88
	s_nop 0                                                    // 0000000083D8: BF800000
	v_cndmask_b32_e64 v66, v35, v66, s[36:37]                  // 0000000083DC: D1000042 00928523
	v_cmp_lt_u32_e64 s[36:37], v207, v36                       // 0000000083E4: D0C90024 000249CF
	v_add_u32_e32 v207, 8, v207                                // 0000000083EC: 699F9E88
	s_nop 0                                                    // 0000000083F0: BF800000
	v_cndmask_b32_e64 v67, v35, v67, s[36:37]                  // 0000000083F4: D1000043 00928723
	v_cmp_lt_u32_e64 s[36:37], v204, v36                       // 0000000083FC: D0C90024 000249CC
	v_add_u32_e32 v204, 8, v204                                // 000000008404: 69999888
	s_nop 0                                                    // 000000008408: BF800000
	v_cndmask_b32_e64 v68, v35, v68, s[36:37]                  // 00000000840C: D1000044 00928923
	v_cmp_lt_u32_e64 s[36:37], v205, v36                       // 000000008414: D0C90024 000249CD
	v_add_u32_e32 v205, 8, v205                                // 00000000841C: 699B9A88
	s_nop 0                                                    // 000000008420: BF800000
	v_cndmask_b32_e64 v69, v35, v69, s[36:37]                  // 000000008424: D1000045 00928B23
	v_cmp_lt_u32_e64 s[36:37], v206, v36                       // 00000000842C: D0C90024 000249CE
	v_add_u32_e32 v206, 8, v206                                // 000000008434: 699D9C88
	s_nop 0                                                    // 000000008438: BF800000
	v_cndmask_b32_e64 v70, v35, v70, s[36:37]                  // 00000000843C: D1000046 00928D23
	v_cmp_lt_u32_e64 s[36:37], v207, v36                       // 000000008444: D0C90024 000249CF
	v_add_u32_e32 v207, 8, v207                                // 00000000844C: 699F9E88
	s_nop 0                                                    // 000000008450: BF800000
	v_cndmask_b32_e64 v71, v35, v71, s[36:37]                  // 000000008454: D1000047 00928F23
	v_cmp_lt_u32_e64 s[36:37], v204, v36                       // 00000000845C: D0C90024 000249CC
	v_add_u32_e32 v204, 8, v204                                // 000000008464: 69999888
	s_nop 0                                                    // 000000008468: BF800000
	v_cndmask_b32_e64 v72, v35, v72, s[36:37]                  // 00000000846C: D1000048 00929123
	v_cmp_lt_u32_e64 s[36:37], v205, v36                       // 000000008474: D0C90024 000249CD
	v_add_u32_e32 v205, 8, v205                                // 00000000847C: 699B9A88
	s_nop 0                                                    // 000000008480: BF800000
	v_cndmask_b32_e64 v73, v35, v73, s[36:37]                  // 000000008484: D1000049 00929323
	v_cmp_lt_u32_e64 s[36:37], v206, v36                       // 00000000848C: D0C90024 000249CE
	v_add_u32_e32 v206, 8, v206                                // 000000008494: 699D9C88
	s_nop 0                                                    // 000000008498: BF800000
	v_cndmask_b32_e64 v74, v35, v74, s[36:37]                  // 00000000849C: D100004A 00929523
	v_cmp_lt_u32_e64 s[36:37], v207, v36                       // 0000000084A4: D0C90024 000249CF
	v_add_u32_e32 v207, 8, v207                                // 0000000084AC: 699F9E88
	s_nop 0                                                    // 0000000084B0: BF800000
	v_cndmask_b32_e64 v75, v35, v75, s[36:37]                  // 0000000084B4: D100004B 00929723
	s_nop 2                                                    // 0000000084BC: BF800002
	v_mov_b32_e32 v213, v60                                    // 0000000084C0: 7FAA033C
	v_max3_f32 v213, v60, v61, v213                            // 0000000084C4: D1D300D5 07567B3C
	v_max3_f32 v213, v62, v63, v213                            // 0000000084CC: D1D300D5 07567F3E
	v_max3_f32 v213, v64, v65, v213                            // 0000000084D4: D1D300D5 07568340
	v_max3_f32 v213, v66, v67, v213                            // 0000000084DC: D1D300D5 07568742
	v_max3_f32 v213, v68, v69, v213                            // 0000000084E4: D1D300D5 07568B44
	v_max3_f32 v213, v70, v71, v213                            // 0000000084EC: D1D300D5 07568F46
	v_max3_f32 v213, v72, v73, v213                            // 0000000084F4: D1D300D5 07569348
	v_max3_f32 v213, v74, v75, v213                            // 0000000084FC: D1D300D5 0756974A
	v_mov_b32_e32 v35, v213                                    // 000000008504: 7E4603D5
	v_mov_b32_e32 v36, v213                                    // 000000008508: 7E4803D5
	s_nop 1                                                    // 00000000850C: BF800001
	v_permlane32_swap_b32_e32 v35, v36                         // 000000008510: 7E46B524
	v_max3_f32 v213, v35, v36, v213                            // 000000008514: D1D300D5 07564923
	ds_write_b32 v41, v213                                     // 00000000851C: D81A0000 0000D529
	s_waitcnt lgkmcnt(0)                                       // 000000008524: BF8CC07F
	s_barrier                                                  // 000000008528: BF8A0000
	ds_read_b32 v35, v40                                       // 00000000852C: D86C0000 23000028
	ds_read_b32 v36, v40 offset:256                            // 000000008534: D86C0100 24000028
	s_waitcnt lgkmcnt(0)                                       // 00000000853C: BF8CC07F
	v_max3_f32 v213, v35, v36, v213                            // 000000008540: D1D300D5 07564923
	v_mov_b32_e32 v35, 0xff800000                              // 000000008548: 7E4602FF FF800000
	v_cmp_eq_u32_e64 s[36:37], v35, v2                         // 000000008550: D0CA0024 00020523
	v_max_f32_e32 v216, v213, v2                               // 000000008558: 17B005D5
	v_sub_f32_e32 v21, v2, v216                                // 00000000855C: 042BB102
	v_cndmask_b32_e64 v21, v21, 0, s[36:37]                    // 000000008560: D1000015 00910115
	v_mov_b32_e32 v2, v216                                     // 000000008568: 7E0403D8
	v_mul_f32_e32 v212, s5, v216                               // 00000000856C: 0BA9B005
	v_mul_f32_e32 v21, s5, v21                                 // 000000008570: 0A2A2A05
	v_exp_f32_e32 v21, v21                                     // 000000008574: 7E2A4115
	v_fma_f32 v60, v60, s5, -v212                              // 000000008578: D1CB003C 87500B3C
	v_fma_f32 v61, v61, s5, -v212                              // 000000008580: D1CB003D 87500B3D
	v_fma_f32 v62, v62, s5, -v212                              // 000000008588: D1CB003E 87500B3E
	v_fma_f32 v63, v63, s5, -v212                              // 000000008590: D1CB003F 87500B3F
	v_fma_f32 v64, v64, s5, -v212                              // 000000008598: D1CB0040 87500B40
	v_fma_f32 v65, v65, s5, -v212                              // 0000000085A0: D1CB0041 87500B41
	v_fma_f32 v66, v66, s5, -v212                              // 0000000085A8: D1CB0042 87500B42
	v_fma_f32 v67, v67, s5, -v212                              // 0000000085B0: D1CB0043 87500B43
	v_fma_f32 v68, v68, s5, -v212                              // 0000000085B8: D1CB0044 87500B44
	v_fma_f32 v69, v69, s5, -v212                              // 0000000085C0: D1CB0045 87500B45
	v_fma_f32 v70, v70, s5, -v212                              // 0000000085C8: D1CB0046 87500B46
	v_fma_f32 v71, v71, s5, -v212                              // 0000000085D0: D1CB0047 87500B47
	v_fma_f32 v72, v72, s5, -v212                              // 0000000085D8: D1CB0048 87500B48
	v_fma_f32 v73, v73, s5, -v212                              // 0000000085E0: D1CB0049 87500B49
	v_fma_f32 v74, v74, s5, -v212                              // 0000000085E8: D1CB004A 87500B4A
	v_fma_f32 v75, v75, s5, -v212                              // 0000000085F0: D1CB004B 87500B4B
	v_mov_b32_e32 v35, 0xffc00000                              // 0000000085F8: 7E4602FF FFC00000
	v_exp_f32_e32 v60, v60                                     // 000000008600: 7E78413C
	v_exp_f32_e32 v61, v61                                     // 000000008604: 7E7A413D
	v_exp_f32_e32 v62, v62                                     // 000000008608: 7E7C413E
	v_exp_f32_e32 v63, v63                                     // 00000000860C: 7E7E413F
	v_exp_f32_e32 v64, v64                                     // 000000008610: 7E804140
	v_exp_f32_e32 v65, v65                                     // 000000008614: 7E824141
	v_exp_f32_e32 v66, v66                                     // 000000008618: 7E844142
	v_exp_f32_e32 v67, v67                                     // 00000000861C: 7E864143
	v_exp_f32_e32 v68, v68                                     // 000000008620: 7E884144
	v_exp_f32_e32 v69, v69                                     // 000000008624: 7E8A4145
	v_exp_f32_e32 v70, v70                                     // 000000008628: 7E8C4146
	v_exp_f32_e32 v71, v71                                     // 00000000862C: 7E8E4147
	v_exp_f32_e32 v72, v72                                     // 000000008630: 7E904148
	v_exp_f32_e32 v73, v73                                     // 000000008634: 7E924149
	v_exp_f32_e32 v74, v74                                     // 000000008638: 7E94414A
	v_exp_f32_e32 v75, v75                                     // 00000000863C: 7E96414B
	v_mul_f32_e32 v4, v21, v4                                  // 000000008640: 0A080915
	v_mov_b32_e32 v35, v60                                     // 000000008644: 7E46033C
	v_add_f32_e32 v35, v61, v35                                // 000000008648: 0246473D
	v_add_f32_e32 v35, v62, v35                                // 00000000864C: 0246473E
	v_add_f32_e32 v35, v63, v35                                // 000000008650: 0246473F
	v_add_f32_e32 v35, v64, v35                                // 000000008654: 02464740
	v_add_f32_e32 v35, v65, v35                                // 000000008658: 02464741
	v_add_f32_e32 v35, v66, v35                                // 00000000865C: 02464742
	v_add_f32_e32 v35, v67, v35                                // 000000008660: 02464743
	v_add_f32_e32 v35, v68, v35                                // 000000008664: 02464744
	;; [unrolled: 1-line block ×3, first 2 shown]
	v_add_f32_e32 v35, v70, v35                                // 00000000866C: 02464746
	v_add_f32_e32 v35, v71, v35                                // 000000008670: 02464747
	v_add_f32_e32 v35, v72, v35                                // 000000008674: 02464748
	;; [unrolled: 1-line block ×3, first 2 shown]
	v_add_f32_e32 v35, v74, v35                                // 00000000867C: 0246474A
	v_add_f32_e32 v35, v75, v35                                // 000000008680: 0246474B
	v_add_f32_e32 v4, v35, v4                                  // 000000008684: 02080923
	v_cvt_pk_fp8_f32 v60, v60, v61                             // 000000008688: D2A2003C 00027B3C
	v_cvt_pk_fp8_f32 v60, v62, v63 op_sel:[0,0,1]              // 000000008690: D2A2403C 00027F3E
	v_cvt_pk_fp8_f32 v61, v64, v65                             // 000000008698: D2A2003D 00028340
	v_cvt_pk_fp8_f32 v61, v66, v67 op_sel:[0,0,1]              // 0000000086A0: D2A2403D 00028742
	v_cvt_pk_fp8_f32 v62, v68, v69                             // 0000000086A8: D2A2003E 00028B44
	v_cvt_pk_fp8_f32 v62, v70, v71 op_sel:[0,0,1]              // 0000000086B0: D2A2403E 00028F46
	v_cvt_pk_fp8_f32 v63, v72, v73                             // 0000000086B8: D2A2003F 00029348
	v_cvt_pk_fp8_f32 v63, v74, v75 op_sel:[0,0,1]              // 0000000086C0: D2A2403F 0002974A
	ds_write_b128 v43, v[60:63] offset:1024                    // 0000000086C8: D9BE0400 00003C2B
	s_waitcnt lgkmcnt(0)                                       // 0000000086D0: BF8CC07F
	s_barrier                                                  // 0000000086D4: BF8A0000
	ds_read_b128 v[60:63], v42 offset:1024                     // 0000000086D8: D9FE0400 3C00002A
	ds_read_b128 v[64:67], v42 offset:2048                     // 0000000086E0: D9FE0800 4000002A
	s_waitcnt lgkmcnt(0)                                       // 0000000086E8: BF8CC07F
	v_permlane32_swap_b32_e32 v60, v62                         // 0000000086EC: 7E78B53E
	v_permlane32_swap_b32_e32 v61, v63                         // 0000000086F0: 7E7AB53F
	v_swap_b32 v61, v62                                        // 0000000086F4: 7E7AA33E
	v_permlane32_swap_b32_e32 v64, v66                         // 0000000086F8: 7E80B542
	v_permlane32_swap_b32_e32 v65, v67                         // 0000000086FC: 7E82B543
	v_swap_b32 v65, v66                                        // 000000008700: 7E82A342
	v_mov_b32_e32 v36, v21                                     // 000000008704: 7E480315
	v_mov_b32_e32 v37, v21                                     // 000000008708: 7E4A0315
	v_pk_mul_f32 v[76:77], v[36:37], v[76:77]                  // 00000000870C: D3B1404C 18029924
	v_pk_mul_f32 v[78:79], v[36:37], v[78:79]                  // 000000008714: D3B1404E 18029D24
	v_pk_mul_f32 v[80:81], v[36:37], v[80:81]                  // 00000000871C: D3B14050 1802A124
	v_pk_mul_f32 v[82:83], v[36:37], v[82:83]                  // 000000008724: D3B14052 1802A524
	v_pk_mul_f32 v[84:85], v[36:37], v[84:85]                  // 00000000872C: D3B14054 1802A924
	v_pk_mul_f32 v[86:87], v[36:37], v[86:87]                  // 000000008734: D3B14056 1802AD24
	v_pk_mul_f32 v[88:89], v[36:37], v[88:89]                  // 00000000873C: D3B14058 1802B124
	v_pk_mul_f32 v[90:91], v[36:37], v[90:91]                  // 000000008744: D3B1405A 1802B524
	v_pk_mul_f32 v[92:93], v[36:37], v[92:93]                  // 00000000874C: D3B1405C 1802B924
	v_pk_mul_f32 v[94:95], v[36:37], v[94:95]                  // 000000008754: D3B1405E 1802BD24
	v_pk_mul_f32 v[96:97], v[36:37], v[96:97]                  // 00000000875C: D3B14060 1802C124
	v_pk_mul_f32 v[98:99], v[36:37], v[98:99]                  // 000000008764: D3B14062 1802C524
	v_pk_mul_f32 v[100:101], v[36:37], v[100:101]              // 00000000876C: D3B14064 1802C924
	v_pk_mul_f32 v[102:103], v[36:37], v[102:103]              // 000000008774: D3B14066 1802CD24
	v_pk_mul_f32 v[104:105], v[36:37], v[104:105]              // 00000000877C: D3B14068 1802D124
	v_pk_mul_f32 v[106:107], v[36:37], v[106:107]              // 000000008784: D3B1406A 1802D524
	v_pk_mul_f32 v[108:109], v[36:37], v[108:109]              // 00000000878C: D3B1406C 1802D924
	v_pk_mul_f32 v[110:111], v[36:37], v[110:111]              // 000000008794: D3B1406E 1802DD24
	v_pk_mul_f32 v[112:113], v[36:37], v[112:113]              // 00000000879C: D3B14070 1802E124
	v_pk_mul_f32 v[114:115], v[36:37], v[114:115]              // 0000000087A4: D3B14072 1802E524
	v_pk_mul_f32 v[116:117], v[36:37], v[116:117]              // 0000000087AC: D3B14074 1802E924
	v_pk_mul_f32 v[118:119], v[36:37], v[118:119]              // 0000000087B4: D3B14076 1802ED24
	v_pk_mul_f32 v[120:121], v[36:37], v[120:121]              // 0000000087BC: D3B14078 1802F124
	v_pk_mul_f32 v[122:123], v[36:37], v[122:123]              // 0000000087C4: D3B1407A 1802F524
	v_pk_mul_f32 v[124:125], v[36:37], v[124:125]              // 0000000087CC: D3B1407C 1802F924
	v_pk_mul_f32 v[126:127], v[36:37], v[126:127]              // 0000000087D4: D3B1407E 1802FD24
	v_pk_mul_f32 v[128:129], v[36:37], v[128:129]              // 0000000087DC: D3B14080 18030124
	v_pk_mul_f32 v[130:131], v[36:37], v[130:131]              // 0000000087E4: D3B14082 18030524
	v_pk_mul_f32 v[132:133], v[36:37], v[132:133]              // 0000000087EC: D3B14084 18030924
	v_pk_mul_f32 v[134:135], v[36:37], v[134:135]              // 0000000087F4: D3B14086 18030D24
	v_pk_mul_f32 v[136:137], v[36:37], v[136:137]              // 0000000087FC: D3B14088 18031124
	v_pk_mul_f32 v[138:139], v[36:37], v[138:139]              // 000000008804: D3B1408A 18031524
	v_pk_mul_f32 v[140:141], v[36:37], v[140:141]              // 00000000880C: D3B1408C 18031924
	v_pk_mul_f32 v[142:143], v[36:37], v[142:143]              // 000000008814: D3B1408E 18031D24
	v_pk_mul_f32 v[144:145], v[36:37], v[144:145]              // 00000000881C: D3B14090 18032124
	v_pk_mul_f32 v[146:147], v[36:37], v[146:147]              // 000000008824: D3B14092 18032524
	v_pk_mul_f32 v[148:149], v[36:37], v[148:149]              // 00000000882C: D3B14094 18032924
	v_pk_mul_f32 v[150:151], v[36:37], v[150:151]              // 000000008834: D3B14096 18032D24
	v_pk_mul_f32 v[152:153], v[36:37], v[152:153]              // 00000000883C: D3B14098 18033124
	v_pk_mul_f32 v[154:155], v[36:37], v[154:155]              // 000000008844: D3B1409A 18033524
	v_pk_mul_f32 v[156:157], v[36:37], v[156:157]              // 00000000884C: D3B1409C 18033924
	v_pk_mul_f32 v[158:159], v[36:37], v[158:159]              // 000000008854: D3B1409E 18033D24
	v_pk_mul_f32 v[160:161], v[36:37], v[160:161]              // 00000000885C: D3B140A0 18034124
	v_pk_mul_f32 v[162:163], v[36:37], v[162:163]              // 000000008864: D3B140A2 18034524
	v_pk_mul_f32 v[164:165], v[36:37], v[164:165]              // 00000000886C: D3B140A4 18034924
	v_pk_mul_f32 v[166:167], v[36:37], v[166:167]              // 000000008874: D3B140A6 18034D24
	v_pk_mul_f32 v[168:169], v[36:37], v[168:169]              // 00000000887C: D3B140A8 18035124
	v_pk_mul_f32 v[170:171], v[36:37], v[170:171]              // 000000008884: D3B140AA 18035524
	v_pk_mul_f32 v[172:173], v[36:37], v[172:173]              // 00000000888C: D3B140AC 18035924
	v_pk_mul_f32 v[174:175], v[36:37], v[174:175]              // 000000008894: D3B140AE 18035D24
	v_pk_mul_f32 v[176:177], v[36:37], v[176:177]              // 00000000889C: D3B140B0 18036124
	v_pk_mul_f32 v[178:179], v[36:37], v[178:179]              // 0000000088A4: D3B140B2 18036524
	v_pk_mul_f32 v[180:181], v[36:37], v[180:181]              // 0000000088AC: D3B140B4 18036924
	v_pk_mul_f32 v[182:183], v[36:37], v[182:183]              // 0000000088B4: D3B140B6 18036D24
	v_pk_mul_f32 v[184:185], v[36:37], v[184:185]              // 0000000088BC: D3B140B8 18037124
	v_pk_mul_f32 v[186:187], v[36:37], v[186:187]              // 0000000088C4: D3B140BA 18037524
	v_pk_mul_f32 v[188:189], v[36:37], v[188:189]              // 0000000088CC: D3B140BC 18037924
	v_pk_mul_f32 v[190:191], v[36:37], v[190:191]              // 0000000088D4: D3B140BE 18037D24
	v_pk_mul_f32 v[192:193], v[36:37], v[192:193]              // 0000000088DC: D3B140C0 18038124
	v_pk_mul_f32 v[194:195], v[36:37], v[194:195]              // 0000000088E4: D3B140C2 18038524
	v_pk_mul_f32 v[196:197], v[36:37], v[196:197]              // 0000000088EC: D3B140C4 18038924
	v_pk_mul_f32 v[198:199], v[36:37], v[198:199]              // 0000000088F4: D3B140C6 18038D24
	v_pk_mul_f32 v[200:201], v[36:37], v[200:201]              // 0000000088FC: D3B140C8 18039124
	v_pk_mul_f32 v[202:203], v[36:37], v[202:203]              // 000000008904: D3B140CA 18039524
	v_mfma_f32_32x32x64_f8f6f4 v[76:91], a[72:79], v[60:67], v[76:91]// 00000000890C: D3AE004C 0D327948
	v_mfma_f32_32x32x64_f8f6f4 v[92:107], a[80:87], v[60:67], v[92:107]// 000000008914: D3AE005C 0D727950
	v_mfma_f32_32x32x64_f8f6f4 v[108:123], a[88:95], v[60:67], v[108:123]// 00000000891C: D3AE006C 0DB27958
	v_mfma_f32_32x32x64_f8f6f4 v[124:139], a[96:103], v[60:67], v[124:139]// 000000008924: D3AE007C 0DF27960
	v_mfma_f32_32x32x64_f8f6f4 v[140:155], a[104:111], v[60:67], v[140:155]// 00000000892C: D3AE008C 0E327968
	v_mfma_f32_32x32x64_f8f6f4 v[156:171], a[112:119], v[60:67], v[156:171]// 000000008934: D3AE009C 0E727970
	v_mfma_f32_32x32x64_f8f6f4 v[172:187], a[120:127], v[60:67], v[172:187]// 00000000893C: D3AE00AC 0EB27978
	v_mfma_f32_32x32x64_f8f6f4 v[188:203], a[128:135], v[60:67], v[188:203]// 000000008944: D3AE00BC 0EF27980
	s_nop 8                                                    // 00000000894C: BF800008
	s_branch label_82A4                                        // 000000008950: BF820714

0000000000008954 <label_6654>:
	s_waitcnt lgkmcnt(4)                                       // 000000008954: BF8CC47F
	v_mfma_f32_32x32x64_f8f6f4 v[44:59], a[72:79], a[0:7], 0   // 000000008958: D3AE002C 1A020148
	v_mfma_f32_32x32x64_f8f6f4 v[44:59], a[80:87], a[8:15], v[44:59]// 000000008960: D3AE002C 1CB21150
	v_mfma_f32_32x32x64_f8f6f4 v[44:59], a[88:95], a[16:23], v[44:59]// 000000008968: D3AE002C 1CB22158
	ds_read_b64_tr_b8 a[72:73], v17                            // 000000008970: DBC40000 48000011
	ds_read_b64_tr_b8 a[74:75], v18                            // 000000008978: DBC40000 4A000012
	ds_read_b64_tr_b8 a[76:77], v17 offset:18432               // 000000008980: DBC44800 4C000011
	ds_read_b64_tr_b8 a[78:79], v18 offset:18432               // 000000008988: DBC44800 4E000012
	v_mfma_f32_32x32x64_f8f6f4 v[44:59], a[96:103], a[24:31], v[44:59]// 000000008990: D3AE002C 1CB23160
	ds_read_b64_tr_b8 a[80:81], v19                            // 000000008998: DBC40000 50000013
	ds_read_b64_tr_b8 a[82:83], v20                            // 0000000089A0: DBC40000 52000014
	ds_read_b64_tr_b8 a[84:85], v19 offset:18432               // 0000000089A8: DBC44800 54000013
	ds_read_b64_tr_b8 a[86:87], v20 offset:18432               // 0000000089B0: DBC44800 56000014
	v_mfma_f32_32x32x64_f8f6f4 v[44:59], a[104:111], a[32:39], v[44:59]// 0000000089B8: D3AE002C 1CB24168
	ds_read_b64_tr_b8 a[88:89], v17 offset:1024                // 0000000089C0: DBC40400 58000011
	ds_read_b64_tr_b8 a[90:91], v18 offset:1024                // 0000000089C8: DBC40400 5A000012
	ds_read_b64_tr_b8 a[92:93], v17 offset:19456               // 0000000089D0: DBC44C00 5C000011
	ds_read_b64_tr_b8 a[94:95], v18 offset:19456               // 0000000089D8: DBC44C00 5E000012
	v_mfma_f32_32x32x64_f8f6f4 v[44:59], a[112:119], a[40:47], v[44:59]// 0000000089E0: D3AE002C 1CB25170
	ds_read_b64_tr_b8 a[96:97], v19 offset:1024                // 0000000089E8: DBC40400 60000013
	ds_read_b64_tr_b8 a[98:99], v20 offset:1024                // 0000000089F0: DBC40400 62000014
	ds_read_b64_tr_b8 a[100:101], v19 offset:19456             // 0000000089F8: DBC44C00 64000013
	ds_read_b64_tr_b8 a[102:103], v20 offset:19456             // 000000008A00: DBC44C00 66000014
	v_mfma_f32_32x32x64_f8f6f4 v[44:59], a[120:127], a[48:55], v[44:59]// 000000008A08: D3AE002C 1CB26178
	ds_read_b64_tr_b8 a[104:105], v17 offset:2048              // 000000008A10: DBC40800 68000011
	ds_read_b64_tr_b8 a[106:107], v18 offset:2048              // 000000008A18: DBC40800 6A000012
	ds_read_b64_tr_b8 a[108:109], v17 offset:20480             // 000000008A20: DBC45000 6C000011
	ds_read_b64_tr_b8 a[110:111], v18 offset:20480             // 000000008A28: DBC45000 6E000012
	v_mfma_f32_32x32x64_f8f6f4 v[44:59], a[128:135], a[56:63], v[44:59]// 000000008A30: D3AE002C 1CB27180
	ds_read_b64_tr_b8 a[112:113], v19 offset:2048              // 000000008A38: DBC40800 70000013
	ds_read_b64_tr_b8 a[114:115], v20 offset:2048              // 000000008A40: DBC40800 72000014
	ds_read_b64_tr_b8 a[116:117], v19 offset:20480             // 000000008A48: DBC45000 74000013
	ds_read_b64_tr_b8 a[118:119], v20 offset:20480             // 000000008A50: DBC45000 76000014
	v_mfma_f32_32x32x64_f8f6f4 v[44:59], a[136:143], a[64:71], v[44:59]// 000000008A58: D3AE002C 1CB28188
	ds_read_b64_tr_b8 a[120:121], v17 offset:3072              // 000000008A60: DBC40C00 78000011
	ds_read_b64_tr_b8 a[122:123], v18 offset:3072              // 000000008A68: DBC40C00 7A000012
	ds_read_b64_tr_b8 a[124:125], v17 offset:21504             // 000000008A70: DBC45400 7C000011
	ds_read_b64_tr_b8 a[126:127], v18 offset:21504             // 000000008A78: DBC45400 7E000012
	ds_read_b64_tr_b8 a[128:129], v19 offset:3072              // 000000008A80: DBC40C00 80000013
	ds_read_b64_tr_b8 a[130:131], v20 offset:3072              // 000000008A88: DBC40C00 82000014
	ds_read_b64_tr_b8 a[132:133], v19 offset:21504             // 000000008A90: DBC45400 84000013
	ds_read_b64_tr_b8 a[134:135], v20 offset:21504             // 000000008A98: DBC45400 86000014
	s_cmp_le_i32 s83, s82                                      // 000000008AA0: BF055253
	s_cbranch_scc1 label_6974                                  // 000000008AA4: BF850073
	v_and_b32_e32 v35, 31, v0                                  // 000000008AA8: 2646009F
	v_lshrrev_b32_e32 v35, 3, v35                              // 000000008AAC: 20464683
	v_add_u32_e32 v35, s82, v35                                // 000000008AB0: 68464652
	s_and_b32 s56, 2, s7                                       // 000000008AB4: 86380782
	s_lshl_b32 s56, s56, 1                                     // 000000008AB8: 8E388138
	v_add_u32_e32 v35, s56, v35                                // 000000008ABC: 68464638
	s_sub_u32 s56, s83, 64                                     // 000000008AC0: 80B8C053
	v_lshrrev_b32_e32 v204, 5, v0                              // 000000008AC4: 21980085
	v_mul_i32_i24_e32 v204, 4, v204                            // 000000008AC8: 0D999884
	v_add_u32_e32 v204, s56, v204                              // 000000008ACC: 69999838
	s_and_b32 s56, s7, 1                                       // 000000008AD0: 86388107
	s_mov_b32 s57, 32                                          // 000000008AD4: BEB900A0
	s_mul_i32 s56, s57, s56                                    // 000000008AD8: 92383839
	v_add_u32_e32 v204, s56, v204                              // 000000008ADC: 69999838
	v_add_u32_e32 v205, 1, v204                                // 000000008AE0: 699B9881
	v_add_u32_e32 v206, 2, v204                                // 000000008AE4: 699D9882
	v_add_u32_e32 v207, 3, v204                                // 000000008AE8: 699F9883
	v_mov_b32_e32 v37, 0xff800000                              // 000000008AEC: 7E4A02FF FF800000
	v_cmp_le_i32_e64 s[36:37], v204, v35                       // 000000008AF4: D0C30024 000247CC
	s_nop 0                                                    // 000000008AFC: BF800000
	v_cndmask_b32_e64 v44, v37, v44, s[36:37]                  // 000000008B00: D100002C 00925925
	v_add_u32_e32 v204, 8, v204                                // 000000008B08: 69999888
	v_cmp_le_i32_e64 s[36:37], v205, v35                       // 000000008B0C: D0C30024 000247CD
	s_nop 0                                                    // 000000008B14: BF800000
	v_cndmask_b32_e64 v45, v37, v45, s[36:37]                  // 000000008B18: D100002D 00925B25
	v_add_u32_e32 v205, 8, v205                                // 000000008B20: 699B9A88
	v_cmp_le_i32_e64 s[36:37], v206, v35                       // 000000008B24: D0C30024 000247CE
	s_nop 0                                                    // 000000008B2C: BF800000
	v_cndmask_b32_e64 v46, v37, v46, s[36:37]                  // 000000008B30: D100002E 00925D25
	v_add_u32_e32 v206, 8, v206                                // 000000008B38: 699D9C88
	v_cmp_le_i32_e64 s[36:37], v207, v35                       // 000000008B3C: D0C30024 000247CF
	s_nop 0                                                    // 000000008B44: BF800000
	v_cndmask_b32_e64 v47, v37, v47, s[36:37]                  // 000000008B48: D100002F 00925F25
	v_add_u32_e32 v207, 8, v207                                // 000000008B50: 699F9E88
	v_cmp_le_i32_e64 s[36:37], v204, v35                       // 000000008B54: D0C30024 000247CC
	s_nop 0                                                    // 000000008B5C: BF800000
	v_cndmask_b32_e64 v48, v37, v48, s[36:37]                  // 000000008B60: D1000030 00926125
	v_add_u32_e32 v204, 8, v204                                // 000000008B68: 69999888
	v_cmp_le_i32_e64 s[36:37], v205, v35                       // 000000008B6C: D0C30024 000247CD
	s_nop 0                                                    // 000000008B74: BF800000
	v_cndmask_b32_e64 v49, v37, v49, s[36:37]                  // 000000008B78: D1000031 00926325
	v_add_u32_e32 v205, 8, v205                                // 000000008B80: 699B9A88
	v_cmp_le_i32_e64 s[36:37], v206, v35                       // 000000008B84: D0C30024 000247CE
	s_nop 0                                                    // 000000008B8C: BF800000
	v_cndmask_b32_e64 v50, v37, v50, s[36:37]                  // 000000008B90: D1000032 00926525
	v_add_u32_e32 v206, 8, v206                                // 000000008B98: 699D9C88
	v_cmp_le_i32_e64 s[36:37], v207, v35                       // 000000008B9C: D0C30024 000247CF
	s_nop 0                                                    // 000000008BA4: BF800000
	v_cndmask_b32_e64 v51, v37, v51, s[36:37]                  // 000000008BA8: D1000033 00926725
	v_add_u32_e32 v207, 8, v207                                // 000000008BB0: 699F9E88
	v_cmp_le_i32_e64 s[36:37], v204, v35                       // 000000008BB4: D0C30024 000247CC
	s_nop 0                                                    // 000000008BBC: BF800000
	v_cndmask_b32_e64 v52, v37, v52, s[36:37]                  // 000000008BC0: D1000034 00926925
	v_add_u32_e32 v204, 8, v204                                // 000000008BC8: 69999888
	v_cmp_le_i32_e64 s[36:37], v205, v35                       // 000000008BCC: D0C30024 000247CD
	s_nop 0                                                    // 000000008BD4: BF800000
	v_cndmask_b32_e64 v53, v37, v53, s[36:37]                  // 000000008BD8: D1000035 00926B25
	v_add_u32_e32 v205, 8, v205                                // 000000008BE0: 699B9A88
	v_cmp_le_i32_e64 s[36:37], v206, v35                       // 000000008BE4: D0C30024 000247CE
	s_nop 0                                                    // 000000008BEC: BF800000
	v_cndmask_b32_e64 v54, v37, v54, s[36:37]                  // 000000008BF0: D1000036 00926D25
	v_add_u32_e32 v206, 8, v206                                // 000000008BF8: 699D9C88
	v_cmp_le_i32_e64 s[36:37], v207, v35                       // 000000008BFC: D0C30024 000247CF
	s_nop 0                                                    // 000000008C04: BF800000
	v_cndmask_b32_e64 v55, v37, v55, s[36:37]                  // 000000008C08: D1000037 00926F25
	v_add_u32_e32 v207, 8, v207                                // 000000008C10: 699F9E88
	v_cmp_le_i32_e64 s[36:37], v204, v35                       // 000000008C14: D0C30024 000247CC
	s_nop 0                                                    // 000000008C1C: BF800000
	v_cndmask_b32_e64 v56, v37, v56, s[36:37]                  // 000000008C20: D1000038 00927125
	v_add_u32_e32 v204, 8, v204                                // 000000008C28: 69999888
	v_cmp_le_i32_e64 s[36:37], v205, v35                       // 000000008C2C: D0C30024 000247CD
	s_nop 0                                                    // 000000008C34: BF800000
	v_cndmask_b32_e64 v57, v37, v57, s[36:37]                  // 000000008C38: D1000039 00927325
	v_add_u32_e32 v205, 8, v205                                // 000000008C40: 699B9A88
	v_cmp_le_i32_e64 s[36:37], v206, v35                       // 000000008C44: D0C30024 000247CE
	s_nop 0                                                    // 000000008C4C: BF800000
	v_cndmask_b32_e64 v58, v37, v58, s[36:37]                  // 000000008C50: D100003A 00927525
	v_add_u32_e32 v206, 8, v206                                // 000000008C58: 699D9C88
	v_cmp_le_i32_e64 s[36:37], v207, v35                       // 000000008C5C: D0C30024 000247CF
	s_nop 0                                                    // 000000008C64: BF800000
	v_cndmask_b32_e64 v59, v37, v59, s[36:37]                  // 000000008C68: D100003B 00927725
	v_add_u32_e32 v207, 8, v207                                // 000000008C70: 699F9E88

0000000000008c74 <label_6974>:
	s_and_b32 s56, s48, 0xff                                   // 000000008C74: 8638FF30 000000FF
	v_mov_b32_e32 v36, s56                                     // 000000008C7C: 7E480238
	v_lshrrev_b32_e32 v204, 5, v0                              // 000000008C80: 21980085
	v_mul_i32_i24_e32 v204, 4, v204                            // 000000008C84: 0D999884
	s_and_b32 s56, s7, 1                                       // 000000008C88: 86388107
	s_mov_b32 s57, 32                                          // 000000008C8C: BEB900A0
	s_mul_i32 s56, s57, s56                                    // 000000008C90: 92383839
	v_add_u32_e32 v204, s56, v204                              // 000000008C94: 69999838
	v_add_u32_e32 v205, 1, v204                                // 000000008C98: 699B9881
	v_add_u32_e32 v206, 2, v204                                // 000000008C9C: 699D9882
	v_add_u32_e32 v207, 3, v204                                // 000000008CA0: 699F9883
	v_mov_b32_e32 v35, 0xff800000                              // 000000008CA4: 7E4602FF FF800000
	v_cmp_lt_u32_e64 s[36:37], v204, v36                       // 000000008CAC: D0C90024 000249CC
	v_add_u32_e32 v204, 8, v204                                // 000000008CB4: 69999888
	s_nop 0                                                    // 000000008CB8: BF800000
	v_cndmask_b32_e64 v44, v35, v44, s[36:37]                  // 000000008CBC: D100002C 00925923
	v_cmp_lt_u32_e64 s[36:37], v205, v36                       // 000000008CC4: D0C90024 000249CD
	v_add_u32_e32 v205, 8, v205                                // 000000008CCC: 699B9A88
	s_nop 0                                                    // 000000008CD0: BF800000
	v_cndmask_b32_e64 v45, v35, v45, s[36:37]                  // 000000008CD4: D100002D 00925B23
	v_cmp_lt_u32_e64 s[36:37], v206, v36                       // 000000008CDC: D0C90024 000249CE
	v_add_u32_e32 v206, 8, v206                                // 000000008CE4: 699D9C88
	s_nop 0                                                    // 000000008CE8: BF800000
	v_cndmask_b32_e64 v46, v35, v46, s[36:37]                  // 000000008CEC: D100002E 00925D23
	v_cmp_lt_u32_e64 s[36:37], v207, v36                       // 000000008CF4: D0C90024 000249CF
	v_add_u32_e32 v207, 8, v207                                // 000000008CFC: 699F9E88
	s_nop 0                                                    // 000000008D00: BF800000
	v_cndmask_b32_e64 v47, v35, v47, s[36:37]                  // 000000008D04: D100002F 00925F23
	v_cmp_lt_u32_e64 s[36:37], v204, v36                       // 000000008D0C: D0C90024 000249CC
	v_add_u32_e32 v204, 8, v204                                // 000000008D14: 69999888
	s_nop 0                                                    // 000000008D18: BF800000
	v_cndmask_b32_e64 v48, v35, v48, s[36:37]                  // 000000008D1C: D1000030 00926123
	v_cmp_lt_u32_e64 s[36:37], v205, v36                       // 000000008D24: D0C90024 000249CD
	v_add_u32_e32 v205, 8, v205                                // 000000008D2C: 699B9A88
	s_nop 0                                                    // 000000008D30: BF800000
	v_cndmask_b32_e64 v49, v35, v49, s[36:37]                  // 000000008D34: D1000031 00926323
	v_cmp_lt_u32_e64 s[36:37], v206, v36                       // 000000008D3C: D0C90024 000249CE
	v_add_u32_e32 v206, 8, v206                                // 000000008D44: 699D9C88
	s_nop 0                                                    // 000000008D48: BF800000
	v_cndmask_b32_e64 v50, v35, v50, s[36:37]                  // 000000008D4C: D1000032 00926523
	v_cmp_lt_u32_e64 s[36:37], v207, v36                       // 000000008D54: D0C90024 000249CF
	v_add_u32_e32 v207, 8, v207                                // 000000008D5C: 699F9E88
	s_nop 0                                                    // 000000008D60: BF800000
	v_cndmask_b32_e64 v51, v35, v51, s[36:37]                  // 000000008D64: D1000033 00926723
	v_cmp_lt_u32_e64 s[36:37], v204, v36                       // 000000008D6C: D0C90024 000249CC
	v_add_u32_e32 v204, 8, v204                                // 000000008D74: 69999888
	s_nop 0                                                    // 000000008D78: BF800000
	v_cndmask_b32_e64 v52, v35, v52, s[36:37]                  // 000000008D7C: D1000034 00926923
	v_cmp_lt_u32_e64 s[36:37], v205, v36                       // 000000008D84: D0C90024 000249CD
	v_add_u32_e32 v205, 8, v205                                // 000000008D8C: 699B9A88
	s_nop 0                                                    // 000000008D90: BF800000
	v_cndmask_b32_e64 v53, v35, v53, s[36:37]                  // 000000008D94: D1000035 00926B23
	v_cmp_lt_u32_e64 s[36:37], v206, v36                       // 000000008D9C: D0C90024 000249CE
	v_add_u32_e32 v206, 8, v206                                // 000000008DA4: 699D9C88
	s_nop 0                                                    // 000000008DA8: BF800000
	v_cndmask_b32_e64 v54, v35, v54, s[36:37]                  // 000000008DAC: D1000036 00926D23
	v_cmp_lt_u32_e64 s[36:37], v207, v36                       // 000000008DB4: D0C90024 000249CF
	v_add_u32_e32 v207, 8, v207                                // 000000008DBC: 699F9E88
	s_nop 0                                                    // 000000008DC0: BF800000
	v_cndmask_b32_e64 v55, v35, v55, s[36:37]                  // 000000008DC4: D1000037 00926F23
	v_cmp_lt_u32_e64 s[36:37], v204, v36                       // 000000008DCC: D0C90024 000249CC
	v_add_u32_e32 v204, 8, v204                                // 000000008DD4: 69999888
	s_nop 0                                                    // 000000008DD8: BF800000
	v_cndmask_b32_e64 v56, v35, v56, s[36:37]                  // 000000008DDC: D1000038 00927123
	v_cmp_lt_u32_e64 s[36:37], v205, v36                       // 000000008DE4: D0C90024 000249CD
	v_add_u32_e32 v205, 8, v205                                // 000000008DEC: 699B9A88
	s_nop 0                                                    // 000000008DF0: BF800000
	v_cndmask_b32_e64 v57, v35, v57, s[36:37]                  // 000000008DF4: D1000039 00927323
	v_cmp_lt_u32_e64 s[36:37], v206, v36                       // 000000008DFC: D0C90024 000249CE
	v_add_u32_e32 v206, 8, v206                                // 000000008E04: 699D9C88
	s_nop 0                                                    // 000000008E08: BF800000
	v_cndmask_b32_e64 v58, v35, v58, s[36:37]                  // 000000008E0C: D100003A 00927523
	v_cmp_lt_u32_e64 s[36:37], v207, v36                       // 000000008E14: D0C90024 000249CF
	v_add_u32_e32 v207, 8, v207                                // 000000008E1C: 699F9E88
	s_nop 0                                                    // 000000008E20: BF800000
	v_cndmask_b32_e64 v59, v35, v59, s[36:37]                  // 000000008E24: D100003B 00927723
	s_nop 2                                                    // 000000008E2C: BF800002
	v_mov_b32_e32 v213, v44                                    // 000000008E30: 7FAA032C
	v_max3_f32 v213, v44, v45, v213                            // 000000008E34: D1D300D5 07565B2C
	v_max3_f32 v213, v46, v47, v213                            // 000000008E3C: D1D300D5 07565F2E
	v_max3_f32 v213, v48, v49, v213                            // 000000008E44: D1D300D5 07566330
	v_max3_f32 v213, v50, v51, v213                            // 000000008E4C: D1D300D5 07566732
	v_max3_f32 v213, v52, v53, v213                            // 000000008E54: D1D300D5 07566B34
	v_max3_f32 v213, v54, v55, v213                            // 000000008E5C: D1D300D5 07566F36
	v_max3_f32 v213, v56, v57, v213                            // 000000008E64: D1D300D5 07567338
	v_max3_f32 v213, v58, v59, v213                            // 000000008E6C: D1D300D5 0756773A
	v_mov_b32_e32 v35, v213                                    // 000000008E74: 7E4603D5
	v_mov_b32_e32 v36, v213                                    // 000000008E78: 7E4803D5
	s_nop 1                                                    // 000000008E7C: BF800001
	v_permlane32_swap_b32_e32 v35, v36                         // 000000008E80: 7E46B524
	v_max3_f32 v213, v35, v36, v213                            // 000000008E84: D1D300D5 07564923
	ds_write_b32 v41, v213                                     // 000000008E8C: D81A0000 0000D529
	s_waitcnt lgkmcnt(0)                                       // 000000008E94: BF8CC07F
	s_barrier                                                  // 000000008E98: BF8A0000
	ds_read_b32 v35, v40                                       // 000000008E9C: D86C0000 23000028
	ds_read_b32 v36, v40 offset:256                            // 000000008EA4: D86C0100 24000028
	s_waitcnt lgkmcnt(0)                                       // 000000008EAC: BF8CC07F
	v_max3_f32 v213, v35, v36, v213                            // 000000008EB0: D1D300D5 07564923
	v_mov_b32_e32 v35, 0xff800000                              // 000000008EB8: 7E4602FF FF800000
	v_cmp_eq_u32_e64 s[36:37], v35, v2                         // 000000008EC0: D0CA0024 00020523
	v_max_f32_e32 v216, v213, v2                               // 000000008EC8: 17B005D5
	v_sub_f32_e32 v21, v2, v216                                // 000000008ECC: 042BB102
	v_cndmask_b32_e64 v21, v21, 0, s[36:37]                    // 000000008ED0: D1000015 00910115
	v_mov_b32_e32 v2, v216                                     // 000000008ED8: 7E0403D8
	v_mul_f32_e32 v212, s5, v216                               // 000000008EDC: 0BA9B005
	v_mul_f32_e32 v21, s5, v21                                 // 000000008EE0: 0A2A2A05
	v_exp_f32_e32 v21, v21                                     // 000000008EE4: 7E2A4115
	v_fma_f32 v44, v44, s5, -v212                              // 000000008EE8: D1CB002C 87500B2C
	v_fma_f32 v45, v45, s5, -v212                              // 000000008EF0: D1CB002D 87500B2D
	v_fma_f32 v46, v46, s5, -v212                              // 000000008EF8: D1CB002E 87500B2E
	v_fma_f32 v47, v47, s5, -v212                              // 000000008F00: D1CB002F 87500B2F
	v_fma_f32 v48, v48, s5, -v212                              // 000000008F08: D1CB0030 87500B30
	v_fma_f32 v49, v49, s5, -v212                              // 000000008F10: D1CB0031 87500B31
	v_fma_f32 v50, v50, s5, -v212                              // 000000008F18: D1CB0032 87500B32
	v_fma_f32 v51, v51, s5, -v212                              // 000000008F20: D1CB0033 87500B33
	v_fma_f32 v52, v52, s5, -v212                              // 000000008F28: D1CB0034 87500B34
	v_fma_f32 v53, v53, s5, -v212                              // 000000008F30: D1CB0035 87500B35
	v_fma_f32 v54, v54, s5, -v212                              // 000000008F38: D1CB0036 87500B36
	v_fma_f32 v55, v55, s5, -v212                              // 000000008F40: D1CB0037 87500B37
	v_fma_f32 v56, v56, s5, -v212                              // 000000008F48: D1CB0038 87500B38
	v_fma_f32 v57, v57, s5, -v212                              // 000000008F50: D1CB0039 87500B39
	v_fma_f32 v58, v58, s5, -v212                              // 000000008F58: D1CB003A 87500B3A
	v_fma_f32 v59, v59, s5, -v212                              // 000000008F60: D1CB003B 87500B3B
	v_mov_b32_e32 v35, 0xffc00000                              // 000000008F68: 7E4602FF FFC00000
	v_exp_f32_e32 v44, v44                                     // 000000008F70: 7E58412C
	v_exp_f32_e32 v45, v45                                     // 000000008F74: 7E5A412D
	v_exp_f32_e32 v46, v46                                     // 000000008F78: 7E5C412E
	v_exp_f32_e32 v47, v47                                     // 000000008F7C: 7E5E412F
	v_exp_f32_e32 v48, v48                                     // 000000008F80: 7E604130
	v_exp_f32_e32 v49, v49                                     // 000000008F84: 7E624131
	v_exp_f32_e32 v50, v50                                     // 000000008F88: 7E644132
	v_exp_f32_e32 v51, v51                                     // 000000008F8C: 7E664133
	v_exp_f32_e32 v52, v52                                     // 000000008F90: 7E684134
	v_exp_f32_e32 v53, v53                                     // 000000008F94: 7E6A4135
	v_exp_f32_e32 v54, v54                                     // 000000008F98: 7E6C4136
	v_exp_f32_e32 v55, v55                                     // 000000008F9C: 7E6E4137
	v_exp_f32_e32 v56, v56                                     // 000000008FA0: 7E704138
	v_exp_f32_e32 v57, v57                                     // 000000008FA4: 7E724139
	v_exp_f32_e32 v58, v58                                     // 000000008FA8: 7E74413A
	v_exp_f32_e32 v59, v59                                     // 000000008FAC: 7E76413B
	v_mul_f32_e32 v4, v21, v4                                  // 000000008FB0: 0A080915
	v_mov_b32_e32 v35, v44                                     // 000000008FB4: 7E46032C
	v_add_f32_e32 v35, v45, v35                                // 000000008FB8: 0246472D
	v_add_f32_e32 v35, v46, v35                                // 000000008FBC: 0246472E
	v_add_f32_e32 v35, v47, v35                                // 000000008FC0: 0246472F
	v_add_f32_e32 v35, v48, v35                                // 000000008FC4: 02464730
	v_add_f32_e32 v35, v49, v35                                // 000000008FC8: 02464731
	v_add_f32_e32 v35, v50, v35                                // 000000008FCC: 02464732
	v_add_f32_e32 v35, v51, v35                                // 000000008FD0: 02464733
	v_add_f32_e32 v35, v52, v35                                // 000000008FD4: 02464734
	v_add_f32_e32 v35, v53, v35                                // 000000008FD8: 02464735
	v_add_f32_e32 v35, v54, v35                                // 000000008FDC: 02464736
	v_add_f32_e32 v35, v55, v35                                // 000000008FE0: 02464737
	v_add_f32_e32 v35, v56, v35                                // 000000008FE4: 02464738
	v_add_f32_e32 v35, v57, v35                                // 000000008FE8: 02464739
	v_add_f32_e32 v35, v58, v35                                // 000000008FEC: 0246473A
	v_add_f32_e32 v35, v59, v35                                // 000000008FF0: 0246473B
	v_add_f32_e32 v4, v35, v4                                  // 000000008FF4: 02080923
	v_cvt_pk_fp8_f32 v44, v44, v45                             // 000000008FF8: D2A2002C 00025B2C
	v_cvt_pk_fp8_f32 v44, v46, v47 op_sel:[0,0,1]              // 000000009000: D2A2402C 00025F2E
	v_cvt_pk_fp8_f32 v45, v48, v49                             // 000000009008: D2A2002D 00026330
	v_cvt_pk_fp8_f32 v45, v50, v51 op_sel:[0,0,1]              // 000000009010: D2A2402D 00026732
	v_cvt_pk_fp8_f32 v46, v52, v53                             // 000000009018: D2A2002E 00026B34
	v_cvt_pk_fp8_f32 v46, v54, v55 op_sel:[0,0,1]              // 000000009020: D2A2402E 00026F36
	v_cvt_pk_fp8_f32 v47, v56, v57                             // 000000009028: D2A2002F 00027338
	v_cvt_pk_fp8_f32 v47, v58, v59 op_sel:[0,0,1]              // 000000009030: D2A2402F 0002773A
	ds_write_b128 v43, v[44:47] offset:1024                    // 000000009038: D9BE0400 00002C2B
	s_waitcnt lgkmcnt(0)                                       // 000000009040: BF8CC07F
	s_barrier                                                  // 000000009044: BF8A0000
	ds_read_b128 v[44:47], v42 offset:1024                     // 000000009048: D9FE0400 2C00002A
	ds_read_b128 v[48:51], v42 offset:2048                     // 000000009050: D9FE0800 3000002A
	s_waitcnt lgkmcnt(0)                                       // 000000009058: BF8CC07F
	v_permlane32_swap_b32_e32 v44, v46                         // 00000000905C: 7E58B52E
	v_permlane32_swap_b32_e32 v45, v47                         // 000000009060: 7E5AB52F
	v_swap_b32 v45, v46                                        // 000000009064: 7E5AA32E
	v_permlane32_swap_b32_e32 v48, v50                         // 000000009068: 7E60B532
	v_permlane32_swap_b32_e32 v49, v51                         // 00000000906C: 7E62B533
	v_swap_b32 v49, v50                                        // 000000009070: 7E62A332
	v_mov_b32_e32 v36, v21                                     // 000000009074: 7E480315
	v_mov_b32_e32 v37, v21                                     // 000000009078: 7E4A0315
	v_pk_mul_f32 v[76:77], v[36:37], v[76:77]                  // 00000000907C: D3B1404C 18029924
	v_pk_mul_f32 v[78:79], v[36:37], v[78:79]                  // 000000009084: D3B1404E 18029D24
	v_pk_mul_f32 v[80:81], v[36:37], v[80:81]                  // 00000000908C: D3B14050 1802A124
	v_pk_mul_f32 v[82:83], v[36:37], v[82:83]                  // 000000009094: D3B14052 1802A524
	v_pk_mul_f32 v[84:85], v[36:37], v[84:85]                  // 00000000909C: D3B14054 1802A924
	v_pk_mul_f32 v[86:87], v[36:37], v[86:87]                  // 0000000090A4: D3B14056 1802AD24
	v_pk_mul_f32 v[88:89], v[36:37], v[88:89]                  // 0000000090AC: D3B14058 1802B124
	v_pk_mul_f32 v[90:91], v[36:37], v[90:91]                  // 0000000090B4: D3B1405A 1802B524
	v_pk_mul_f32 v[92:93], v[36:37], v[92:93]                  // 0000000090BC: D3B1405C 1802B924
	v_pk_mul_f32 v[94:95], v[36:37], v[94:95]                  // 0000000090C4: D3B1405E 1802BD24
	v_pk_mul_f32 v[96:97], v[36:37], v[96:97]                  // 0000000090CC: D3B14060 1802C124
	v_pk_mul_f32 v[98:99], v[36:37], v[98:99]                  // 0000000090D4: D3B14062 1802C524
	v_pk_mul_f32 v[100:101], v[36:37], v[100:101]              // 0000000090DC: D3B14064 1802C924
	v_pk_mul_f32 v[102:103], v[36:37], v[102:103]              // 0000000090E4: D3B14066 1802CD24
	v_pk_mul_f32 v[104:105], v[36:37], v[104:105]              // 0000000090EC: D3B14068 1802D124
	v_pk_mul_f32 v[106:107], v[36:37], v[106:107]              // 0000000090F4: D3B1406A 1802D524
	v_pk_mul_f32 v[108:109], v[36:37], v[108:109]              // 0000000090FC: D3B1406C 1802D924
	v_pk_mul_f32 v[110:111], v[36:37], v[110:111]              // 000000009104: D3B1406E 1802DD24
	v_pk_mul_f32 v[112:113], v[36:37], v[112:113]              // 00000000910C: D3B14070 1802E124
	v_pk_mul_f32 v[114:115], v[36:37], v[114:115]              // 000000009114: D3B14072 1802E524
	v_pk_mul_f32 v[116:117], v[36:37], v[116:117]              // 00000000911C: D3B14074 1802E924
	v_pk_mul_f32 v[118:119], v[36:37], v[118:119]              // 000000009124: D3B14076 1802ED24
	v_pk_mul_f32 v[120:121], v[36:37], v[120:121]              // 00000000912C: D3B14078 1802F124
	v_pk_mul_f32 v[122:123], v[36:37], v[122:123]              // 000000009134: D3B1407A 1802F524
	v_pk_mul_f32 v[124:125], v[36:37], v[124:125]              // 00000000913C: D3B1407C 1802F924
	v_pk_mul_f32 v[126:127], v[36:37], v[126:127]              // 000000009144: D3B1407E 1802FD24
	v_pk_mul_f32 v[128:129], v[36:37], v[128:129]              // 00000000914C: D3B14080 18030124
	v_pk_mul_f32 v[130:131], v[36:37], v[130:131]              // 000000009154: D3B14082 18030524
	v_pk_mul_f32 v[132:133], v[36:37], v[132:133]              // 00000000915C: D3B14084 18030924
	v_pk_mul_f32 v[134:135], v[36:37], v[134:135]              // 000000009164: D3B14086 18030D24
	v_pk_mul_f32 v[136:137], v[36:37], v[136:137]              // 00000000916C: D3B14088 18031124
	v_pk_mul_f32 v[138:139], v[36:37], v[138:139]              // 000000009174: D3B1408A 18031524
	v_pk_mul_f32 v[140:141], v[36:37], v[140:141]              // 00000000917C: D3B1408C 18031924
	v_pk_mul_f32 v[142:143], v[36:37], v[142:143]              // 000000009184: D3B1408E 18031D24
	v_pk_mul_f32 v[144:145], v[36:37], v[144:145]              // 00000000918C: D3B14090 18032124
	v_pk_mul_f32 v[146:147], v[36:37], v[146:147]              // 000000009194: D3B14092 18032524
	v_pk_mul_f32 v[148:149], v[36:37], v[148:149]              // 00000000919C: D3B14094 18032924
	v_pk_mul_f32 v[150:151], v[36:37], v[150:151]              // 0000000091A4: D3B14096 18032D24
	v_pk_mul_f32 v[152:153], v[36:37], v[152:153]              // 0000000091AC: D3B14098 18033124
	v_pk_mul_f32 v[154:155], v[36:37], v[154:155]              // 0000000091B4: D3B1409A 18033524
	v_pk_mul_f32 v[156:157], v[36:37], v[156:157]              // 0000000091BC: D3B1409C 18033924
	v_pk_mul_f32 v[158:159], v[36:37], v[158:159]              // 0000000091C4: D3B1409E 18033D24
	v_pk_mul_f32 v[160:161], v[36:37], v[160:161]              // 0000000091CC: D3B140A0 18034124
	v_pk_mul_f32 v[162:163], v[36:37], v[162:163]              // 0000000091D4: D3B140A2 18034524
	v_pk_mul_f32 v[164:165], v[36:37], v[164:165]              // 0000000091DC: D3B140A4 18034924
	v_pk_mul_f32 v[166:167], v[36:37], v[166:167]              // 0000000091E4: D3B140A6 18034D24
	v_pk_mul_f32 v[168:169], v[36:37], v[168:169]              // 0000000091EC: D3B140A8 18035124
	v_pk_mul_f32 v[170:171], v[36:37], v[170:171]              // 0000000091F4: D3B140AA 18035524
	v_pk_mul_f32 v[172:173], v[36:37], v[172:173]              // 0000000091FC: D3B140AC 18035924
	v_pk_mul_f32 v[174:175], v[36:37], v[174:175]              // 000000009204: D3B140AE 18035D24
	v_pk_mul_f32 v[176:177], v[36:37], v[176:177]              // 00000000920C: D3B140B0 18036124
	v_pk_mul_f32 v[178:179], v[36:37], v[178:179]              // 000000009214: D3B140B2 18036524
	v_pk_mul_f32 v[180:181], v[36:37], v[180:181]              // 00000000921C: D3B140B4 18036924
	v_pk_mul_f32 v[182:183], v[36:37], v[182:183]              // 000000009224: D3B140B6 18036D24
	v_pk_mul_f32 v[184:185], v[36:37], v[184:185]              // 00000000922C: D3B140B8 18037124
	v_pk_mul_f32 v[186:187], v[36:37], v[186:187]              // 000000009234: D3B140BA 18037524
	v_pk_mul_f32 v[188:189], v[36:37], v[188:189]              // 00000000923C: D3B140BC 18037924
	v_pk_mul_f32 v[190:191], v[36:37], v[190:191]              // 000000009244: D3B140BE 18037D24
	v_pk_mul_f32 v[192:193], v[36:37], v[192:193]              // 00000000924C: D3B140C0 18038124
	v_pk_mul_f32 v[194:195], v[36:37], v[194:195]              // 000000009254: D3B140C2 18038524
	v_pk_mul_f32 v[196:197], v[36:37], v[196:197]              // 00000000925C: D3B140C4 18038924
	v_pk_mul_f32 v[198:199], v[36:37], v[198:199]              // 000000009264: D3B140C6 18038D24
	v_pk_mul_f32 v[200:201], v[36:37], v[200:201]              // 00000000926C: D3B140C8 18039124
	v_pk_mul_f32 v[202:203], v[36:37], v[202:203]              // 000000009274: D3B140CA 18039524
	v_mfma_f32_32x32x64_f8f6f4 v[76:91], a[72:79], v[44:51], v[76:91]// 00000000927C: D3AE004C 0D325948
	v_mfma_f32_32x32x64_f8f6f4 v[92:107], a[80:87], v[44:51], v[92:107]// 000000009284: D3AE005C 0D725950
	v_mfma_f32_32x32x64_f8f6f4 v[108:123], a[88:95], v[44:51], v[108:123]// 00000000928C: D3AE006C 0DB25958
	v_mfma_f32_32x32x64_f8f6f4 v[124:139], a[96:103], v[44:51], v[124:139]// 000000009294: D3AE007C 0DF25960
	v_mfma_f32_32x32x64_f8f6f4 v[140:155], a[104:111], v[44:51], v[140:155]// 00000000929C: D3AE008C 0E325968
	v_mfma_f32_32x32x64_f8f6f4 v[156:171], a[112:119], v[44:51], v[156:171]// 0000000092A4: D3AE009C 0E725970
	v_mfma_f32_32x32x64_f8f6f4 v[172:187], a[120:127], v[44:51], v[172:187]// 0000000092AC: D3AE00AC 0EB25978
	v_mfma_f32_32x32x64_f8f6f4 v[188:203], a[128:135], v[44:51], v[188:203]// 0000000092B4: D3AE00BC 0EF25980
	s_nop 8                                                    // 0000000092BC: BF800008
	s_branch label_82A4                                        // 0000000092C0: BF8204B8

00000000000092c4 <label_6FC4>:
	s_waitcnt lgkmcnt(4)                                       // 0000000092C4: BF8CC47F
	v_mfma_f32_32x32x64_f8f6f4 v[60:75], a[72:79], a[0:7], 0   // 0000000092C8: D3AE003C 1A020148
	v_mfma_f32_32x32x64_f8f6f4 v[60:75], a[80:87], a[8:15], v[60:75]// 0000000092D0: D3AE003C 1CF21150
	v_mfma_f32_32x32x64_f8f6f4 v[60:75], a[88:95], a[16:23], v[60:75]// 0000000092D8: D3AE003C 1CF22158
	ds_read_b64_tr_b8 a[72:73], v5                             // 0000000092E0: DBC40000 48000005
	ds_read_b64_tr_b8 a[74:75], v6                             // 0000000092E8: DBC40000 4A000006
	ds_read_b64_tr_b8 a[76:77], v5 offset:18432                // 0000000092F0: DBC44800 4C000005
	ds_read_b64_tr_b8 a[78:79], v6 offset:18432                // 0000000092F8: DBC44800 4E000006
	v_mfma_f32_32x32x64_f8f6f4 v[60:75], a[96:103], a[24:31], v[60:75]// 000000009300: D3AE003C 1CF23160
	ds_read_b64_tr_b8 a[80:81], v7                             // 000000009308: DBC40000 50000007
	ds_read_b64_tr_b8 a[82:83], v8                             // 000000009310: DBC40000 52000008
	ds_read_b64_tr_b8 a[84:85], v7 offset:18432                // 000000009318: DBC44800 54000007
	ds_read_b64_tr_b8 a[86:87], v8 offset:18432                // 000000009320: DBC44800 56000008
	v_mfma_f32_32x32x64_f8f6f4 v[60:75], a[104:111], a[32:39], v[60:75]// 000000009328: D3AE003C 1CF24168
	ds_read_b64_tr_b8 a[88:89], v5 offset:1024                 // 000000009330: DBC40400 58000005
	ds_read_b64_tr_b8 a[90:91], v6 offset:1024                 // 000000009338: DBC40400 5A000006
	ds_read_b64_tr_b8 a[92:93], v5 offset:19456                // 000000009340: DBC44C00 5C000005
	ds_read_b64_tr_b8 a[94:95], v6 offset:19456                // 000000009348: DBC44C00 5E000006
	v_mfma_f32_32x32x64_f8f6f4 v[60:75], a[112:119], a[40:47], v[60:75]// 000000009350: D3AE003C 1CF25170
	ds_read_b64_tr_b8 a[96:97], v7 offset:1024                 // 000000009358: DBC40400 60000007
	ds_read_b64_tr_b8 a[98:99], v8 offset:1024                 // 000000009360: DBC40400 62000008
	ds_read_b64_tr_b8 a[100:101], v7 offset:19456              // 000000009368: DBC44C00 64000007
	ds_read_b64_tr_b8 a[102:103], v8 offset:19456              // 000000009370: DBC44C00 66000008
	v_mfma_f32_32x32x64_f8f6f4 v[60:75], a[120:127], a[48:55], v[60:75]// 000000009378: D3AE003C 1CF26178
	ds_read_b64_tr_b8 a[104:105], v5 offset:2048               // 000000009380: DBC40800 68000005
	ds_read_b64_tr_b8 a[106:107], v6 offset:2048               // 000000009388: DBC40800 6A000006
	ds_read_b64_tr_b8 a[108:109], v5 offset:20480              // 000000009390: DBC45000 6C000005
	ds_read_b64_tr_b8 a[110:111], v6 offset:20480              // 000000009398: DBC45000 6E000006
	v_mfma_f32_32x32x64_f8f6f4 v[60:75], a[128:135], a[56:63], v[60:75]// 0000000093A0: D3AE003C 1CF27180
	ds_read_b64_tr_b8 a[112:113], v7 offset:2048               // 0000000093A8: DBC40800 70000007
	ds_read_b64_tr_b8 a[114:115], v8 offset:2048               // 0000000093B0: DBC40800 72000008
	ds_read_b64_tr_b8 a[116:117], v7 offset:20480              // 0000000093B8: DBC45000 74000007
	ds_read_b64_tr_b8 a[118:119], v8 offset:20480              // 0000000093C0: DBC45000 76000008
	v_mfma_f32_32x32x64_f8f6f4 v[60:75], a[136:143], a[64:71], v[60:75]// 0000000093C8: D3AE003C 1CF28188
	ds_read_b64_tr_b8 a[120:121], v5 offset:3072               // 0000000093D0: DBC40C00 78000005
	ds_read_b64_tr_b8 a[122:123], v6 offset:3072               // 0000000093D8: DBC40C00 7A000006
	ds_read_b64_tr_b8 a[124:125], v5 offset:21504              // 0000000093E0: DBC45400 7C000005
	ds_read_b64_tr_b8 a[126:127], v6 offset:21504              // 0000000093E8: DBC45400 7E000006
	ds_read_b64_tr_b8 a[128:129], v7 offset:3072               // 0000000093F0: DBC40C00 80000007
	ds_read_b64_tr_b8 a[130:131], v8 offset:3072               // 0000000093F8: DBC40C00 82000008
	ds_read_b64_tr_b8 a[132:133], v7 offset:21504              // 000000009400: DBC45400 84000007
	ds_read_b64_tr_b8 a[134:135], v8 offset:21504              // 000000009408: DBC45400 86000008
	s_cmp_le_i32 s83, s82                                      // 000000009410: BF055253
	s_cbranch_scc1 label_72E4                                  // 000000009414: BF850073
	v_and_b32_e32 v35, 31, v0                                  // 000000009418: 2646009F
	v_lshrrev_b32_e32 v35, 3, v35                              // 00000000941C: 20464683
	v_add_u32_e32 v35, s82, v35                                // 000000009420: 68464652
	s_and_b32 s56, 2, s7                                       // 000000009424: 86380782
	s_lshl_b32 s56, s56, 1                                     // 000000009428: 8E388138
	v_add_u32_e32 v35, s56, v35                                // 00000000942C: 68464638
	s_sub_u32 s56, s83, 64                                     // 000000009430: 80B8C053
	v_lshrrev_b32_e32 v204, 5, v0                              // 000000009434: 21980085
	v_mul_i32_i24_e32 v204, 4, v204                            // 000000009438: 0D999884
	v_add_u32_e32 v204, s56, v204                              // 00000000943C: 69999838
	s_and_b32 s56, s7, 1                                       // 000000009440: 86388107
	s_mov_b32 s57, 32                                          // 000000009444: BEB900A0
	s_mul_i32 s56, s57, s56                                    // 000000009448: 92383839
	v_add_u32_e32 v204, s56, v204                              // 00000000944C: 69999838
	v_add_u32_e32 v205, 1, v204                                // 000000009450: 699B9881
	v_add_u32_e32 v206, 2, v204                                // 000000009454: 699D9882
	v_add_u32_e32 v207, 3, v204                                // 000000009458: 699F9883
	v_mov_b32_e32 v37, 0xff800000                              // 00000000945C: 7E4A02FF FF800000
	v_cmp_le_i32_e64 s[36:37], v204, v35                       // 000000009464: D0C30024 000247CC
	s_nop 0                                                    // 00000000946C: BF800000
	v_cndmask_b32_e64 v60, v37, v60, s[36:37]                  // 000000009470: D100003C 00927925
	v_add_u32_e32 v204, 8, v204                                // 000000009478: 69999888
	v_cmp_le_i32_e64 s[36:37], v205, v35                       // 00000000947C: D0C30024 000247CD
	s_nop 0                                                    // 000000009484: BF800000
	v_cndmask_b32_e64 v61, v37, v61, s[36:37]                  // 000000009488: D100003D 00927B25
	v_add_u32_e32 v205, 8, v205                                // 000000009490: 699B9A88
	v_cmp_le_i32_e64 s[36:37], v206, v35                       // 000000009494: D0C30024 000247CE
	s_nop 0                                                    // 00000000949C: BF800000
	v_cndmask_b32_e64 v62, v37, v62, s[36:37]                  // 0000000094A0: D100003E 00927D25
	v_add_u32_e32 v206, 8, v206                                // 0000000094A8: 699D9C88
	v_cmp_le_i32_e64 s[36:37], v207, v35                       // 0000000094AC: D0C30024 000247CF
	s_nop 0                                                    // 0000000094B4: BF800000
	v_cndmask_b32_e64 v63, v37, v63, s[36:37]                  // 0000000094B8: D100003F 00927F25
	v_add_u32_e32 v207, 8, v207                                // 0000000094C0: 699F9E88
	v_cmp_le_i32_e64 s[36:37], v204, v35                       // 0000000094C4: D0C30024 000247CC
	s_nop 0                                                    // 0000000094CC: BF800000
	v_cndmask_b32_e64 v64, v37, v64, s[36:37]                  // 0000000094D0: D1000040 00928125
	v_add_u32_e32 v204, 8, v204                                // 0000000094D8: 69999888
	v_cmp_le_i32_e64 s[36:37], v205, v35                       // 0000000094DC: D0C30024 000247CD
	s_nop 0                                                    // 0000000094E4: BF800000
	v_cndmask_b32_e64 v65, v37, v65, s[36:37]                  // 0000000094E8: D1000041 00928325
	v_add_u32_e32 v205, 8, v205                                // 0000000094F0: 699B9A88
	v_cmp_le_i32_e64 s[36:37], v206, v35                       // 0000000094F4: D0C30024 000247CE
	s_nop 0                                                    // 0000000094FC: BF800000
	v_cndmask_b32_e64 v66, v37, v66, s[36:37]                  // 000000009500: D1000042 00928525
	v_add_u32_e32 v206, 8, v206                                // 000000009508: 699D9C88
	v_cmp_le_i32_e64 s[36:37], v207, v35                       // 00000000950C: D0C30024 000247CF
	s_nop 0                                                    // 000000009514: BF800000
	v_cndmask_b32_e64 v67, v37, v67, s[36:37]                  // 000000009518: D1000043 00928725
	v_add_u32_e32 v207, 8, v207                                // 000000009520: 699F9E88
	v_cmp_le_i32_e64 s[36:37], v204, v35                       // 000000009524: D0C30024 000247CC
	s_nop 0                                                    // 00000000952C: BF800000
	v_cndmask_b32_e64 v68, v37, v68, s[36:37]                  // 000000009530: D1000044 00928925
	v_add_u32_e32 v204, 8, v204                                // 000000009538: 69999888
	v_cmp_le_i32_e64 s[36:37], v205, v35                       // 00000000953C: D0C30024 000247CD
	s_nop 0                                                    // 000000009544: BF800000
	v_cndmask_b32_e64 v69, v37, v69, s[36:37]                  // 000000009548: D1000045 00928B25
	v_add_u32_e32 v205, 8, v205                                // 000000009550: 699B9A88
	v_cmp_le_i32_e64 s[36:37], v206, v35                       // 000000009554: D0C30024 000247CE
	s_nop 0                                                    // 00000000955C: BF800000
	v_cndmask_b32_e64 v70, v37, v70, s[36:37]                  // 000000009560: D1000046 00928D25
	v_add_u32_e32 v206, 8, v206                                // 000000009568: 699D9C88
	v_cmp_le_i32_e64 s[36:37], v207, v35                       // 00000000956C: D0C30024 000247CF
	s_nop 0                                                    // 000000009574: BF800000
	v_cndmask_b32_e64 v71, v37, v71, s[36:37]                  // 000000009578: D1000047 00928F25
	v_add_u32_e32 v207, 8, v207                                // 000000009580: 699F9E88
	v_cmp_le_i32_e64 s[36:37], v204, v35                       // 000000009584: D0C30024 000247CC
	s_nop 0                                                    // 00000000958C: BF800000
	v_cndmask_b32_e64 v72, v37, v72, s[36:37]                  // 000000009590: D1000048 00929125
	v_add_u32_e32 v204, 8, v204                                // 000000009598: 69999888
	v_cmp_le_i32_e64 s[36:37], v205, v35                       // 00000000959C: D0C30024 000247CD
	s_nop 0                                                    // 0000000095A4: BF800000
	v_cndmask_b32_e64 v73, v37, v73, s[36:37]                  // 0000000095A8: D1000049 00929325
	v_add_u32_e32 v205, 8, v205                                // 0000000095B0: 699B9A88
	v_cmp_le_i32_e64 s[36:37], v206, v35                       // 0000000095B4: D0C30024 000247CE
	s_nop 0                                                    // 0000000095BC: BF800000
	v_cndmask_b32_e64 v74, v37, v74, s[36:37]                  // 0000000095C0: D100004A 00929525
	v_add_u32_e32 v206, 8, v206                                // 0000000095C8: 699D9C88
	v_cmp_le_i32_e64 s[36:37], v207, v35                       // 0000000095CC: D0C30024 000247CF
	s_nop 0                                                    // 0000000095D4: BF800000
	v_cndmask_b32_e64 v75, v37, v75, s[36:37]                  // 0000000095D8: D100004B 00929725
	v_add_u32_e32 v207, 8, v207                                // 0000000095E0: 699F9E88

00000000000095e4 <label_72E4>:
	s_and_b32 s56, s48, 0xff                                   // 0000000095E4: 8638FF30 000000FF
	v_mov_b32_e32 v36, s56                                     // 0000000095EC: 7E480238
	v_lshrrev_b32_e32 v204, 5, v0                              // 0000000095F0: 21980085
	v_mul_i32_i24_e32 v204, 4, v204                            // 0000000095F4: 0D999884
	s_and_b32 s56, s7, 1                                       // 0000000095F8: 86388107
	s_mov_b32 s57, 32                                          // 0000000095FC: BEB900A0
	s_mul_i32 s56, s57, s56                                    // 000000009600: 92383839
	v_add_u32_e32 v204, s56, v204                              // 000000009604: 69999838
	v_add_u32_e32 v205, 1, v204                                // 000000009608: 699B9881
	v_add_u32_e32 v206, 2, v204                                // 00000000960C: 699D9882
	v_add_u32_e32 v207, 3, v204                                // 000000009610: 699F9883
	v_mov_b32_e32 v35, 0xff800000                              // 000000009614: 7E4602FF FF800000
	v_cmp_lt_u32_e64 s[36:37], v204, v36                       // 00000000961C: D0C90024 000249CC
	v_add_u32_e32 v204, 8, v204                                // 000000009624: 69999888
	s_nop 0                                                    // 000000009628: BF800000
	v_cndmask_b32_e64 v60, v35, v60, s[36:37]                  // 00000000962C: D100003C 00927923
	v_cmp_lt_u32_e64 s[36:37], v205, v36                       // 000000009634: D0C90024 000249CD
	v_add_u32_e32 v205, 8, v205                                // 00000000963C: 699B9A88
	s_nop 0                                                    // 000000009640: BF800000
	v_cndmask_b32_e64 v61, v35, v61, s[36:37]                  // 000000009644: D100003D 00927B23
	v_cmp_lt_u32_e64 s[36:37], v206, v36                       // 00000000964C: D0C90024 000249CE
	v_add_u32_e32 v206, 8, v206                                // 000000009654: 699D9C88
	s_nop 0                                                    // 000000009658: BF800000
	v_cndmask_b32_e64 v62, v35, v62, s[36:37]                  // 00000000965C: D100003E 00927D23
	v_cmp_lt_u32_e64 s[36:37], v207, v36                       // 000000009664: D0C90024 000249CF
	v_add_u32_e32 v207, 8, v207                                // 00000000966C: 699F9E88
	s_nop 0                                                    // 000000009670: BF800000
	v_cndmask_b32_e64 v63, v35, v63, s[36:37]                  // 000000009674: D100003F 00927F23
	v_cmp_lt_u32_e64 s[36:37], v204, v36                       // 00000000967C: D0C90024 000249CC
	v_add_u32_e32 v204, 8, v204                                // 000000009684: 69999888
	s_nop 0                                                    // 000000009688: BF800000
	v_cndmask_b32_e64 v64, v35, v64, s[36:37]                  // 00000000968C: D1000040 00928123
	v_cmp_lt_u32_e64 s[36:37], v205, v36                       // 000000009694: D0C90024 000249CD
	v_add_u32_e32 v205, 8, v205                                // 00000000969C: 699B9A88
	s_nop 0                                                    // 0000000096A0: BF800000
	v_cndmask_b32_e64 v65, v35, v65, s[36:37]                  // 0000000096A4: D1000041 00928323
	v_cmp_lt_u32_e64 s[36:37], v206, v36                       // 0000000096AC: D0C90024 000249CE
	v_add_u32_e32 v206, 8, v206                                // 0000000096B4: 699D9C88
	s_nop 0                                                    // 0000000096B8: BF800000
	v_cndmask_b32_e64 v66, v35, v66, s[36:37]                  // 0000000096BC: D1000042 00928523
	v_cmp_lt_u32_e64 s[36:37], v207, v36                       // 0000000096C4: D0C90024 000249CF
	v_add_u32_e32 v207, 8, v207                                // 0000000096CC: 699F9E88
	s_nop 0                                                    // 0000000096D0: BF800000
	v_cndmask_b32_e64 v67, v35, v67, s[36:37]                  // 0000000096D4: D1000043 00928723
	v_cmp_lt_u32_e64 s[36:37], v204, v36                       // 0000000096DC: D0C90024 000249CC
	v_add_u32_e32 v204, 8, v204                                // 0000000096E4: 69999888
	s_nop 0                                                    // 0000000096E8: BF800000
	v_cndmask_b32_e64 v68, v35, v68, s[36:37]                  // 0000000096EC: D1000044 00928923
	v_cmp_lt_u32_e64 s[36:37], v205, v36                       // 0000000096F4: D0C90024 000249CD
	v_add_u32_e32 v205, 8, v205                                // 0000000096FC: 699B9A88
	s_nop 0                                                    // 000000009700: BF800000
	v_cndmask_b32_e64 v69, v35, v69, s[36:37]                  // 000000009704: D1000045 00928B23
	v_cmp_lt_u32_e64 s[36:37], v206, v36                       // 00000000970C: D0C90024 000249CE
	v_add_u32_e32 v206, 8, v206                                // 000000009714: 699D9C88
	s_nop 0                                                    // 000000009718: BF800000
	v_cndmask_b32_e64 v70, v35, v70, s[36:37]                  // 00000000971C: D1000046 00928D23
	v_cmp_lt_u32_e64 s[36:37], v207, v36                       // 000000009724: D0C90024 000249CF
	v_add_u32_e32 v207, 8, v207                                // 00000000972C: 699F9E88
	s_nop 0                                                    // 000000009730: BF800000
	v_cndmask_b32_e64 v71, v35, v71, s[36:37]                  // 000000009734: D1000047 00928F23
	v_cmp_lt_u32_e64 s[36:37], v204, v36                       // 00000000973C: D0C90024 000249CC
	v_add_u32_e32 v204, 8, v204                                // 000000009744: 69999888
	s_nop 0                                                    // 000000009748: BF800000
	v_cndmask_b32_e64 v72, v35, v72, s[36:37]                  // 00000000974C: D1000048 00929123
	v_cmp_lt_u32_e64 s[36:37], v205, v36                       // 000000009754: D0C90024 000249CD
	v_add_u32_e32 v205, 8, v205                                // 00000000975C: 699B9A88
	s_nop 0                                                    // 000000009760: BF800000
	v_cndmask_b32_e64 v73, v35, v73, s[36:37]                  // 000000009764: D1000049 00929323
	v_cmp_lt_u32_e64 s[36:37], v206, v36                       // 00000000976C: D0C90024 000249CE
	v_add_u32_e32 v206, 8, v206                                // 000000009774: 699D9C88
	s_nop 0                                                    // 000000009778: BF800000
	v_cndmask_b32_e64 v74, v35, v74, s[36:37]                  // 00000000977C: D100004A 00929523
	v_cmp_lt_u32_e64 s[36:37], v207, v36                       // 000000009784: D0C90024 000249CF
	v_add_u32_e32 v207, 8, v207                                // 00000000978C: 699F9E88
	s_nop 0                                                    // 000000009790: BF800000
	v_cndmask_b32_e64 v75, v35, v75, s[36:37]                  // 000000009794: D100004B 00929723
	s_nop 2                                                    // 00000000979C: BF800002
	v_mov_b32_e32 v213, v60                                    // 0000000097A0: 7FAA033C
	v_max3_f32 v213, v60, v61, v213                            // 0000000097A4: D1D300D5 07567B3C
	v_max3_f32 v213, v62, v63, v213                            // 0000000097AC: D1D300D5 07567F3E
	v_max3_f32 v213, v64, v65, v213                            // 0000000097B4: D1D300D5 07568340
	v_max3_f32 v213, v66, v67, v213                            // 0000000097BC: D1D300D5 07568742
	v_max3_f32 v213, v68, v69, v213                            // 0000000097C4: D1D300D5 07568B44
	v_max3_f32 v213, v70, v71, v213                            // 0000000097CC: D1D300D5 07568F46
	v_max3_f32 v213, v72, v73, v213                            // 0000000097D4: D1D300D5 07569348
	v_max3_f32 v213, v74, v75, v213                            // 0000000097DC: D1D300D5 0756974A
	v_mov_b32_e32 v35, v213                                    // 0000000097E4: 7E4603D5
	v_mov_b32_e32 v36, v213                                    // 0000000097E8: 7E4803D5
	s_nop 1                                                    // 0000000097EC: BF800001
	v_permlane32_swap_b32_e32 v35, v36                         // 0000000097F0: 7E46B524
	v_max3_f32 v213, v35, v36, v213                            // 0000000097F4: D1D300D5 07564923
	ds_write_b32 v41, v213                                     // 0000000097FC: D81A0000 0000D529
	s_waitcnt lgkmcnt(0)                                       // 000000009804: BF8CC07F
	s_barrier                                                  // 000000009808: BF8A0000
	ds_read_b32 v35, v40                                       // 00000000980C: D86C0000 23000028
	ds_read_b32 v36, v40 offset:256                            // 000000009814: D86C0100 24000028
	s_waitcnt lgkmcnt(0)                                       // 00000000981C: BF8CC07F
	v_max3_f32 v213, v35, v36, v213                            // 000000009820: D1D300D5 07564923
	v_mov_b32_e32 v35, 0xff800000                              // 000000009828: 7E4602FF FF800000
	v_cmp_eq_u32_e64 s[36:37], v35, v2                         // 000000009830: D0CA0024 00020523
	v_max_f32_e32 v216, v213, v2                               // 000000009838: 17B005D5
	v_sub_f32_e32 v21, v2, v216                                // 00000000983C: 042BB102
	v_cndmask_b32_e64 v21, v21, 0, s[36:37]                    // 000000009840: D1000015 00910115
	v_mov_b32_e32 v2, v216                                     // 000000009848: 7E0403D8
	v_mul_f32_e32 v212, s5, v216                               // 00000000984C: 0BA9B005
	v_mul_f32_e32 v21, s5, v21                                 // 000000009850: 0A2A2A05
	v_exp_f32_e32 v21, v21                                     // 000000009854: 7E2A4115
	v_fma_f32 v60, v60, s5, -v212                              // 000000009858: D1CB003C 87500B3C
	v_fma_f32 v61, v61, s5, -v212                              // 000000009860: D1CB003D 87500B3D
	v_fma_f32 v62, v62, s5, -v212                              // 000000009868: D1CB003E 87500B3E
	v_fma_f32 v63, v63, s5, -v212                              // 000000009870: D1CB003F 87500B3F
	v_fma_f32 v64, v64, s5, -v212                              // 000000009878: D1CB0040 87500B40
	v_fma_f32 v65, v65, s5, -v212                              // 000000009880: D1CB0041 87500B41
	v_fma_f32 v66, v66, s5, -v212                              // 000000009888: D1CB0042 87500B42
	v_fma_f32 v67, v67, s5, -v212                              // 000000009890: D1CB0043 87500B43
	v_fma_f32 v68, v68, s5, -v212                              // 000000009898: D1CB0044 87500B44
	v_fma_f32 v69, v69, s5, -v212                              // 0000000098A0: D1CB0045 87500B45
	v_fma_f32 v70, v70, s5, -v212                              // 0000000098A8: D1CB0046 87500B46
	v_fma_f32 v71, v71, s5, -v212                              // 0000000098B0: D1CB0047 87500B47
	v_fma_f32 v72, v72, s5, -v212                              // 0000000098B8: D1CB0048 87500B48
	v_fma_f32 v73, v73, s5, -v212                              // 0000000098C0: D1CB0049 87500B49
	v_fma_f32 v74, v74, s5, -v212                              // 0000000098C8: D1CB004A 87500B4A
	v_fma_f32 v75, v75, s5, -v212                              // 0000000098D0: D1CB004B 87500B4B
	v_mov_b32_e32 v35, 0xffc00000                              // 0000000098D8: 7E4602FF FFC00000
	v_exp_f32_e32 v60, v60                                     // 0000000098E0: 7E78413C
	v_exp_f32_e32 v61, v61                                     // 0000000098E4: 7E7A413D
	v_exp_f32_e32 v62, v62                                     // 0000000098E8: 7E7C413E
	v_exp_f32_e32 v63, v63                                     // 0000000098EC: 7E7E413F
	v_exp_f32_e32 v64, v64                                     // 0000000098F0: 7E804140
	v_exp_f32_e32 v65, v65                                     // 0000000098F4: 7E824141
	v_exp_f32_e32 v66, v66                                     // 0000000098F8: 7E844142
	v_exp_f32_e32 v67, v67                                     // 0000000098FC: 7E864143
	v_exp_f32_e32 v68, v68                                     // 000000009900: 7E884144
	v_exp_f32_e32 v69, v69                                     // 000000009904: 7E8A4145
	v_exp_f32_e32 v70, v70                                     // 000000009908: 7E8C4146
	v_exp_f32_e32 v71, v71                                     // 00000000990C: 7E8E4147
	v_exp_f32_e32 v72, v72                                     // 000000009910: 7E904148
	v_exp_f32_e32 v73, v73                                     // 000000009914: 7E924149
	v_exp_f32_e32 v74, v74                                     // 000000009918: 7E94414A
	v_exp_f32_e32 v75, v75                                     // 00000000991C: 7E96414B
	v_mul_f32_e32 v4, v21, v4                                  // 000000009920: 0A080915
	v_mov_b32_e32 v35, v60                                     // 000000009924: 7E46033C
	v_add_f32_e32 v35, v61, v35                                // 000000009928: 0246473D
	v_add_f32_e32 v35, v62, v35                                // 00000000992C: 0246473E
	v_add_f32_e32 v35, v63, v35                                // 000000009930: 0246473F
	v_add_f32_e32 v35, v64, v35                                // 000000009934: 02464740
	v_add_f32_e32 v35, v65, v35                                // 000000009938: 02464741
	v_add_f32_e32 v35, v66, v35                                // 00000000993C: 02464742
	v_add_f32_e32 v35, v67, v35                                // 000000009940: 02464743
	v_add_f32_e32 v35, v68, v35                                // 000000009944: 02464744
	;; [unrolled: 1-line block ×3, first 2 shown]
	v_add_f32_e32 v35, v70, v35                                // 00000000994C: 02464746
	v_add_f32_e32 v35, v71, v35                                // 000000009950: 02464747
	v_add_f32_e32 v35, v72, v35                                // 000000009954: 02464748
	;; [unrolled: 1-line block ×3, first 2 shown]
	v_add_f32_e32 v35, v74, v35                                // 00000000995C: 0246474A
	v_add_f32_e32 v35, v75, v35                                // 000000009960: 0246474B
	v_add_f32_e32 v4, v35, v4                                  // 000000009964: 02080923
	v_cvt_pk_fp8_f32 v60, v60, v61                             // 000000009968: D2A2003C 00027B3C
	v_cvt_pk_fp8_f32 v60, v62, v63 op_sel:[0,0,1]              // 000000009970: D2A2403C 00027F3E
	v_cvt_pk_fp8_f32 v61, v64, v65                             // 000000009978: D2A2003D 00028340
	v_cvt_pk_fp8_f32 v61, v66, v67 op_sel:[0,0,1]              // 000000009980: D2A2403D 00028742
	v_cvt_pk_fp8_f32 v62, v68, v69                             // 000000009988: D2A2003E 00028B44
	v_cvt_pk_fp8_f32 v62, v70, v71 op_sel:[0,0,1]              // 000000009990: D2A2403E 00028F46
	v_cvt_pk_fp8_f32 v63, v72, v73                             // 000000009998: D2A2003F 00029348
	v_cvt_pk_fp8_f32 v63, v74, v75 op_sel:[0,0,1]              // 0000000099A0: D2A2403F 0002974A
	ds_write_b128 v43, v[60:63] offset:1024                    // 0000000099A8: D9BE0400 00003C2B
	s_waitcnt lgkmcnt(0)                                       // 0000000099B0: BF8CC07F
	s_barrier                                                  // 0000000099B4: BF8A0000
	ds_read_b128 v[60:63], v42 offset:1024                     // 0000000099B8: D9FE0400 3C00002A
	ds_read_b128 v[64:67], v42 offset:2048                     // 0000000099C0: D9FE0800 4000002A
	s_waitcnt lgkmcnt(0)                                       // 0000000099C8: BF8CC07F
	v_permlane32_swap_b32_e32 v60, v62                         // 0000000099CC: 7E78B53E
	v_permlane32_swap_b32_e32 v61, v63                         // 0000000099D0: 7E7AB53F
	v_swap_b32 v61, v62                                        // 0000000099D4: 7E7AA33E
	v_permlane32_swap_b32_e32 v64, v66                         // 0000000099D8: 7E80B542
	v_permlane32_swap_b32_e32 v65, v67                         // 0000000099DC: 7E82B543
	v_swap_b32 v65, v66                                        // 0000000099E0: 7E82A342
	v_mov_b32_e32 v36, v21                                     // 0000000099E4: 7E480315
	v_mov_b32_e32 v37, v21                                     // 0000000099E8: 7E4A0315
	v_pk_mul_f32 v[76:77], v[36:37], v[76:77]                  // 0000000099EC: D3B1404C 18029924
	v_pk_mul_f32 v[78:79], v[36:37], v[78:79]                  // 0000000099F4: D3B1404E 18029D24
	v_pk_mul_f32 v[80:81], v[36:37], v[80:81]                  // 0000000099FC: D3B14050 1802A124
	v_pk_mul_f32 v[82:83], v[36:37], v[82:83]                  // 000000009A04: D3B14052 1802A524
	v_pk_mul_f32 v[84:85], v[36:37], v[84:85]                  // 000000009A0C: D3B14054 1802A924
	v_pk_mul_f32 v[86:87], v[36:37], v[86:87]                  // 000000009A14: D3B14056 1802AD24
	v_pk_mul_f32 v[88:89], v[36:37], v[88:89]                  // 000000009A1C: D3B14058 1802B124
	v_pk_mul_f32 v[90:91], v[36:37], v[90:91]                  // 000000009A24: D3B1405A 1802B524
	v_pk_mul_f32 v[92:93], v[36:37], v[92:93]                  // 000000009A2C: D3B1405C 1802B924
	v_pk_mul_f32 v[94:95], v[36:37], v[94:95]                  // 000000009A34: D3B1405E 1802BD24
	v_pk_mul_f32 v[96:97], v[36:37], v[96:97]                  // 000000009A3C: D3B14060 1802C124
	v_pk_mul_f32 v[98:99], v[36:37], v[98:99]                  // 000000009A44: D3B14062 1802C524
	v_pk_mul_f32 v[100:101], v[36:37], v[100:101]              // 000000009A4C: D3B14064 1802C924
	v_pk_mul_f32 v[102:103], v[36:37], v[102:103]              // 000000009A54: D3B14066 1802CD24
	v_pk_mul_f32 v[104:105], v[36:37], v[104:105]              // 000000009A5C: D3B14068 1802D124
	v_pk_mul_f32 v[106:107], v[36:37], v[106:107]              // 000000009A64: D3B1406A 1802D524
	v_pk_mul_f32 v[108:109], v[36:37], v[108:109]              // 000000009A6C: D3B1406C 1802D924
	v_pk_mul_f32 v[110:111], v[36:37], v[110:111]              // 000000009A74: D3B1406E 1802DD24
	v_pk_mul_f32 v[112:113], v[36:37], v[112:113]              // 000000009A7C: D3B14070 1802E124
	v_pk_mul_f32 v[114:115], v[36:37], v[114:115]              // 000000009A84: D3B14072 1802E524
	v_pk_mul_f32 v[116:117], v[36:37], v[116:117]              // 000000009A8C: D3B14074 1802E924
	v_pk_mul_f32 v[118:119], v[36:37], v[118:119]              // 000000009A94: D3B14076 1802ED24
	v_pk_mul_f32 v[120:121], v[36:37], v[120:121]              // 000000009A9C: D3B14078 1802F124
	v_pk_mul_f32 v[122:123], v[36:37], v[122:123]              // 000000009AA4: D3B1407A 1802F524
	v_pk_mul_f32 v[124:125], v[36:37], v[124:125]              // 000000009AAC: D3B1407C 1802F924
	v_pk_mul_f32 v[126:127], v[36:37], v[126:127]              // 000000009AB4: D3B1407E 1802FD24
	v_pk_mul_f32 v[128:129], v[36:37], v[128:129]              // 000000009ABC: D3B14080 18030124
	v_pk_mul_f32 v[130:131], v[36:37], v[130:131]              // 000000009AC4: D3B14082 18030524
	v_pk_mul_f32 v[132:133], v[36:37], v[132:133]              // 000000009ACC: D3B14084 18030924
	v_pk_mul_f32 v[134:135], v[36:37], v[134:135]              // 000000009AD4: D3B14086 18030D24
	v_pk_mul_f32 v[136:137], v[36:37], v[136:137]              // 000000009ADC: D3B14088 18031124
	v_pk_mul_f32 v[138:139], v[36:37], v[138:139]              // 000000009AE4: D3B1408A 18031524
	v_pk_mul_f32 v[140:141], v[36:37], v[140:141]              // 000000009AEC: D3B1408C 18031924
	v_pk_mul_f32 v[142:143], v[36:37], v[142:143]              // 000000009AF4: D3B1408E 18031D24
	v_pk_mul_f32 v[144:145], v[36:37], v[144:145]              // 000000009AFC: D3B14090 18032124
	v_pk_mul_f32 v[146:147], v[36:37], v[146:147]              // 000000009B04: D3B14092 18032524
	v_pk_mul_f32 v[148:149], v[36:37], v[148:149]              // 000000009B0C: D3B14094 18032924
	v_pk_mul_f32 v[150:151], v[36:37], v[150:151]              // 000000009B14: D3B14096 18032D24
	v_pk_mul_f32 v[152:153], v[36:37], v[152:153]              // 000000009B1C: D3B14098 18033124
	v_pk_mul_f32 v[154:155], v[36:37], v[154:155]              // 000000009B24: D3B1409A 18033524
	v_pk_mul_f32 v[156:157], v[36:37], v[156:157]              // 000000009B2C: D3B1409C 18033924
	v_pk_mul_f32 v[158:159], v[36:37], v[158:159]              // 000000009B34: D3B1409E 18033D24
	v_pk_mul_f32 v[160:161], v[36:37], v[160:161]              // 000000009B3C: D3B140A0 18034124
	v_pk_mul_f32 v[162:163], v[36:37], v[162:163]              // 000000009B44: D3B140A2 18034524
	v_pk_mul_f32 v[164:165], v[36:37], v[164:165]              // 000000009B4C: D3B140A4 18034924
	v_pk_mul_f32 v[166:167], v[36:37], v[166:167]              // 000000009B54: D3B140A6 18034D24
	v_pk_mul_f32 v[168:169], v[36:37], v[168:169]              // 000000009B5C: D3B140A8 18035124
	v_pk_mul_f32 v[170:171], v[36:37], v[170:171]              // 000000009B64: D3B140AA 18035524
	v_pk_mul_f32 v[172:173], v[36:37], v[172:173]              // 000000009B6C: D3B140AC 18035924
	v_pk_mul_f32 v[174:175], v[36:37], v[174:175]              // 000000009B74: D3B140AE 18035D24
	v_pk_mul_f32 v[176:177], v[36:37], v[176:177]              // 000000009B7C: D3B140B0 18036124
	v_pk_mul_f32 v[178:179], v[36:37], v[178:179]              // 000000009B84: D3B140B2 18036524
	v_pk_mul_f32 v[180:181], v[36:37], v[180:181]              // 000000009B8C: D3B140B4 18036924
	v_pk_mul_f32 v[182:183], v[36:37], v[182:183]              // 000000009B94: D3B140B6 18036D24
	v_pk_mul_f32 v[184:185], v[36:37], v[184:185]              // 000000009B9C: D3B140B8 18037124
	v_pk_mul_f32 v[186:187], v[36:37], v[186:187]              // 000000009BA4: D3B140BA 18037524
	v_pk_mul_f32 v[188:189], v[36:37], v[188:189]              // 000000009BAC: D3B140BC 18037924
	v_pk_mul_f32 v[190:191], v[36:37], v[190:191]              // 000000009BB4: D3B140BE 18037D24
	v_pk_mul_f32 v[192:193], v[36:37], v[192:193]              // 000000009BBC: D3B140C0 18038124
	v_pk_mul_f32 v[194:195], v[36:37], v[194:195]              // 000000009BC4: D3B140C2 18038524
	v_pk_mul_f32 v[196:197], v[36:37], v[196:197]              // 000000009BCC: D3B140C4 18038924
	v_pk_mul_f32 v[198:199], v[36:37], v[198:199]              // 000000009BD4: D3B140C6 18038D24
	v_pk_mul_f32 v[200:201], v[36:37], v[200:201]              // 000000009BDC: D3B140C8 18039124
	v_pk_mul_f32 v[202:203], v[36:37], v[202:203]              // 000000009BE4: D3B140CA 18039524
	v_mfma_f32_32x32x64_f8f6f4 v[76:91], a[72:79], v[60:67], v[76:91]// 000000009BEC: D3AE004C 0D327948
	v_mfma_f32_32x32x64_f8f6f4 v[92:107], a[80:87], v[60:67], v[92:107]// 000000009BF4: D3AE005C 0D727950
	v_mfma_f32_32x32x64_f8f6f4 v[108:123], a[88:95], v[60:67], v[108:123]// 000000009BFC: D3AE006C 0DB27958
	v_mfma_f32_32x32x64_f8f6f4 v[124:139], a[96:103], v[60:67], v[124:139]// 000000009C04: D3AE007C 0DF27960
	v_mfma_f32_32x32x64_f8f6f4 v[140:155], a[104:111], v[60:67], v[140:155]// 000000009C0C: D3AE008C 0E327968
	v_mfma_f32_32x32x64_f8f6f4 v[156:171], a[112:119], v[60:67], v[156:171]// 000000009C14: D3AE009C 0E727970
	v_mfma_f32_32x32x64_f8f6f4 v[172:187], a[120:127], v[60:67], v[172:187]// 000000009C1C: D3AE00AC 0EB27978
	v_mfma_f32_32x32x64_f8f6f4 v[188:203], a[128:135], v[60:67], v[188:203]// 000000009C24: D3AE00BC 0EF27980
	s_nop 8                                                    // 000000009C2C: BF800008
	s_branch label_82A4                                        // 000000009C30: BF82025C

0000000000009c34 <label_7934>:
	s_waitcnt lgkmcnt(4)                                       // 000000009C34: BF8CC47F
	v_mfma_f32_32x32x64_f8f6f4 v[44:59], a[72:79], a[0:7], 0   // 000000009C38: D3AE002C 1A020148
	v_mfma_f32_32x32x64_f8f6f4 v[44:59], a[80:87], a[8:15], v[44:59]// 000000009C40: D3AE002C 1CB21150
	v_mfma_f32_32x32x64_f8f6f4 v[44:59], a[88:95], a[16:23], v[44:59]// 000000009C48: D3AE002C 1CB22158
	ds_read_b64_tr_b8 a[72:73], v9                             // 000000009C50: DBC40000 48000009
	ds_read_b64_tr_b8 a[74:75], v10                            // 000000009C58: DBC40000 4A00000A
	ds_read_b64_tr_b8 a[76:77], v9 offset:18432                // 000000009C60: DBC44800 4C000009
	ds_read_b64_tr_b8 a[78:79], v10 offset:18432               // 000000009C68: DBC44800 4E00000A
	v_mfma_f32_32x32x64_f8f6f4 v[44:59], a[96:103], a[24:31], v[44:59]// 000000009C70: D3AE002C 1CB23160
	ds_read_b64_tr_b8 a[80:81], v11                            // 000000009C78: DBC40000 5000000B
	ds_read_b64_tr_b8 a[82:83], v12                            // 000000009C80: DBC40000 5200000C
	ds_read_b64_tr_b8 a[84:85], v11 offset:18432               // 000000009C88: DBC44800 5400000B
	ds_read_b64_tr_b8 a[86:87], v12 offset:18432               // 000000009C90: DBC44800 5600000C
	v_mfma_f32_32x32x64_f8f6f4 v[44:59], a[104:111], a[32:39], v[44:59]// 000000009C98: D3AE002C 1CB24168
	ds_read_b64_tr_b8 a[88:89], v9 offset:1024                 // 000000009CA0: DBC40400 58000009
	ds_read_b64_tr_b8 a[90:91], v10 offset:1024                // 000000009CA8: DBC40400 5A00000A
	ds_read_b64_tr_b8 a[92:93], v9 offset:19456                // 000000009CB0: DBC44C00 5C000009
	ds_read_b64_tr_b8 a[94:95], v10 offset:19456               // 000000009CB8: DBC44C00 5E00000A
	v_mfma_f32_32x32x64_f8f6f4 v[44:59], a[112:119], a[40:47], v[44:59]// 000000009CC0: D3AE002C 1CB25170
	ds_read_b64_tr_b8 a[96:97], v11 offset:1024                // 000000009CC8: DBC40400 6000000B
	ds_read_b64_tr_b8 a[98:99], v12 offset:1024                // 000000009CD0: DBC40400 6200000C
	ds_read_b64_tr_b8 a[100:101], v11 offset:19456             // 000000009CD8: DBC44C00 6400000B
	ds_read_b64_tr_b8 a[102:103], v12 offset:19456             // 000000009CE0: DBC44C00 6600000C
	v_mfma_f32_32x32x64_f8f6f4 v[44:59], a[120:127], a[48:55], v[44:59]// 000000009CE8: D3AE002C 1CB26178
	ds_read_b64_tr_b8 a[104:105], v9 offset:2048               // 000000009CF0: DBC40800 68000009
	ds_read_b64_tr_b8 a[106:107], v10 offset:2048              // 000000009CF8: DBC40800 6A00000A
	ds_read_b64_tr_b8 a[108:109], v9 offset:20480              // 000000009D00: DBC45000 6C000009
	ds_read_b64_tr_b8 a[110:111], v10 offset:20480             // 000000009D08: DBC45000 6E00000A
	v_mfma_f32_32x32x64_f8f6f4 v[44:59], a[128:135], a[56:63], v[44:59]// 000000009D10: D3AE002C 1CB27180
	ds_read_b64_tr_b8 a[112:113], v11 offset:2048              // 000000009D18: DBC40800 7000000B
	ds_read_b64_tr_b8 a[114:115], v12 offset:2048              // 000000009D20: DBC40800 7200000C
	ds_read_b64_tr_b8 a[116:117], v11 offset:20480             // 000000009D28: DBC45000 7400000B
	ds_read_b64_tr_b8 a[118:119], v12 offset:20480             // 000000009D30: DBC45000 7600000C
	v_mfma_f32_32x32x64_f8f6f4 v[44:59], a[136:143], a[64:71], v[44:59]// 000000009D38: D3AE002C 1CB28188
	ds_read_b64_tr_b8 a[120:121], v9 offset:3072               // 000000009D40: DBC40C00 78000009
	ds_read_b64_tr_b8 a[122:123], v10 offset:3072              // 000000009D48: DBC40C00 7A00000A
	ds_read_b64_tr_b8 a[124:125], v9 offset:21504              // 000000009D50: DBC45400 7C000009
	ds_read_b64_tr_b8 a[126:127], v10 offset:21504             // 000000009D58: DBC45400 7E00000A
	ds_read_b64_tr_b8 a[128:129], v11 offset:3072              // 000000009D60: DBC40C00 8000000B
	ds_read_b64_tr_b8 a[130:131], v12 offset:3072              // 000000009D68: DBC40C00 8200000C
	ds_read_b64_tr_b8 a[132:133], v11 offset:21504             // 000000009D70: DBC45400 8400000B
	ds_read_b64_tr_b8 a[134:135], v12 offset:21504             // 000000009D78: DBC45400 8600000C
	s_cmp_le_i32 s83, s82                                      // 000000009D80: BF055253
	s_cbranch_scc1 label_7C54                                  // 000000009D84: BF850073
	v_and_b32_e32 v35, 31, v0                                  // 000000009D88: 2646009F
	v_lshrrev_b32_e32 v35, 3, v35                              // 000000009D8C: 20464683
	v_add_u32_e32 v35, s82, v35                                // 000000009D90: 68464652
	s_and_b32 s56, 2, s7                                       // 000000009D94: 86380782
	s_lshl_b32 s56, s56, 1                                     // 000000009D98: 8E388138
	v_add_u32_e32 v35, s56, v35                                // 000000009D9C: 68464638
	s_sub_u32 s56, s83, 64                                     // 000000009DA0: 80B8C053
	v_lshrrev_b32_e32 v204, 5, v0                              // 000000009DA4: 21980085
	v_mul_i32_i24_e32 v204, 4, v204                            // 000000009DA8: 0D999884
	v_add_u32_e32 v204, s56, v204                              // 000000009DAC: 69999838
	s_and_b32 s56, s7, 1                                       // 000000009DB0: 86388107
	s_mov_b32 s57, 32                                          // 000000009DB4: BEB900A0
	s_mul_i32 s56, s57, s56                                    // 000000009DB8: 92383839
	v_add_u32_e32 v204, s56, v204                              // 000000009DBC: 69999838
	v_add_u32_e32 v205, 1, v204                                // 000000009DC0: 699B9881
	v_add_u32_e32 v206, 2, v204                                // 000000009DC4: 699D9882
	v_add_u32_e32 v207, 3, v204                                // 000000009DC8: 699F9883
	v_mov_b32_e32 v37, 0xff800000                              // 000000009DCC: 7E4A02FF FF800000
	v_cmp_le_i32_e64 s[36:37], v204, v35                       // 000000009DD4: D0C30024 000247CC
	s_nop 0                                                    // 000000009DDC: BF800000
	v_cndmask_b32_e64 v44, v37, v44, s[36:37]                  // 000000009DE0: D100002C 00925925
	v_add_u32_e32 v204, 8, v204                                // 000000009DE8: 69999888
	v_cmp_le_i32_e64 s[36:37], v205, v35                       // 000000009DEC: D0C30024 000247CD
	s_nop 0                                                    // 000000009DF4: BF800000
	v_cndmask_b32_e64 v45, v37, v45, s[36:37]                  // 000000009DF8: D100002D 00925B25
	v_add_u32_e32 v205, 8, v205                                // 000000009E00: 699B9A88
	v_cmp_le_i32_e64 s[36:37], v206, v35                       // 000000009E04: D0C30024 000247CE
	s_nop 0                                                    // 000000009E0C: BF800000
	v_cndmask_b32_e64 v46, v37, v46, s[36:37]                  // 000000009E10: D100002E 00925D25
	v_add_u32_e32 v206, 8, v206                                // 000000009E18: 699D9C88
	v_cmp_le_i32_e64 s[36:37], v207, v35                       // 000000009E1C: D0C30024 000247CF
	s_nop 0                                                    // 000000009E24: BF800000
	v_cndmask_b32_e64 v47, v37, v47, s[36:37]                  // 000000009E28: D100002F 00925F25
	v_add_u32_e32 v207, 8, v207                                // 000000009E30: 699F9E88
	v_cmp_le_i32_e64 s[36:37], v204, v35                       // 000000009E34: D0C30024 000247CC
	s_nop 0                                                    // 000000009E3C: BF800000
	v_cndmask_b32_e64 v48, v37, v48, s[36:37]                  // 000000009E40: D1000030 00926125
	v_add_u32_e32 v204, 8, v204                                // 000000009E48: 69999888
	v_cmp_le_i32_e64 s[36:37], v205, v35                       // 000000009E4C: D0C30024 000247CD
	s_nop 0                                                    // 000000009E54: BF800000
	v_cndmask_b32_e64 v49, v37, v49, s[36:37]                  // 000000009E58: D1000031 00926325
	v_add_u32_e32 v205, 8, v205                                // 000000009E60: 699B9A88
	v_cmp_le_i32_e64 s[36:37], v206, v35                       // 000000009E64: D0C30024 000247CE
	s_nop 0                                                    // 000000009E6C: BF800000
	v_cndmask_b32_e64 v50, v37, v50, s[36:37]                  // 000000009E70: D1000032 00926525
	v_add_u32_e32 v206, 8, v206                                // 000000009E78: 699D9C88
	v_cmp_le_i32_e64 s[36:37], v207, v35                       // 000000009E7C: D0C30024 000247CF
	s_nop 0                                                    // 000000009E84: BF800000
	v_cndmask_b32_e64 v51, v37, v51, s[36:37]                  // 000000009E88: D1000033 00926725
	v_add_u32_e32 v207, 8, v207                                // 000000009E90: 699F9E88
	v_cmp_le_i32_e64 s[36:37], v204, v35                       // 000000009E94: D0C30024 000247CC
	s_nop 0                                                    // 000000009E9C: BF800000
	v_cndmask_b32_e64 v52, v37, v52, s[36:37]                  // 000000009EA0: D1000034 00926925
	v_add_u32_e32 v204, 8, v204                                // 000000009EA8: 69999888
	v_cmp_le_i32_e64 s[36:37], v205, v35                       // 000000009EAC: D0C30024 000247CD
	s_nop 0                                                    // 000000009EB4: BF800000
	v_cndmask_b32_e64 v53, v37, v53, s[36:37]                  // 000000009EB8: D1000035 00926B25
	v_add_u32_e32 v205, 8, v205                                // 000000009EC0: 699B9A88
	v_cmp_le_i32_e64 s[36:37], v206, v35                       // 000000009EC4: D0C30024 000247CE
	s_nop 0                                                    // 000000009ECC: BF800000
	v_cndmask_b32_e64 v54, v37, v54, s[36:37]                  // 000000009ED0: D1000036 00926D25
	v_add_u32_e32 v206, 8, v206                                // 000000009ED8: 699D9C88
	v_cmp_le_i32_e64 s[36:37], v207, v35                       // 000000009EDC: D0C30024 000247CF
	s_nop 0                                                    // 000000009EE4: BF800000
	v_cndmask_b32_e64 v55, v37, v55, s[36:37]                  // 000000009EE8: D1000037 00926F25
	v_add_u32_e32 v207, 8, v207                                // 000000009EF0: 699F9E88
	v_cmp_le_i32_e64 s[36:37], v204, v35                       // 000000009EF4: D0C30024 000247CC
	s_nop 0                                                    // 000000009EFC: BF800000
	v_cndmask_b32_e64 v56, v37, v56, s[36:37]                  // 000000009F00: D1000038 00927125
	v_add_u32_e32 v204, 8, v204                                // 000000009F08: 69999888
	v_cmp_le_i32_e64 s[36:37], v205, v35                       // 000000009F0C: D0C30024 000247CD
	s_nop 0                                                    // 000000009F14: BF800000
	v_cndmask_b32_e64 v57, v37, v57, s[36:37]                  // 000000009F18: D1000039 00927325
	v_add_u32_e32 v205, 8, v205                                // 000000009F20: 699B9A88
	v_cmp_le_i32_e64 s[36:37], v206, v35                       // 000000009F24: D0C30024 000247CE
	s_nop 0                                                    // 000000009F2C: BF800000
	v_cndmask_b32_e64 v58, v37, v58, s[36:37]                  // 000000009F30: D100003A 00927525
	v_add_u32_e32 v206, 8, v206                                // 000000009F38: 699D9C88
	v_cmp_le_i32_e64 s[36:37], v207, v35                       // 000000009F3C: D0C30024 000247CF
	s_nop 0                                                    // 000000009F44: BF800000
	v_cndmask_b32_e64 v59, v37, v59, s[36:37]                  // 000000009F48: D100003B 00927725
	v_add_u32_e32 v207, 8, v207                                // 000000009F50: 699F9E88

0000000000009f54 <label_7C54>:
	s_and_b32 s56, s48, 0xff                                   // 000000009F54: 8638FF30 000000FF
	v_mov_b32_e32 v36, s56                                     // 000000009F5C: 7E480238
	v_lshrrev_b32_e32 v204, 5, v0                              // 000000009F60: 21980085
	v_mul_i32_i24_e32 v204, 4, v204                            // 000000009F64: 0D999884
	s_and_b32 s56, s7, 1                                       // 000000009F68: 86388107
	s_mov_b32 s57, 32                                          // 000000009F6C: BEB900A0
	s_mul_i32 s56, s57, s56                                    // 000000009F70: 92383839
	v_add_u32_e32 v204, s56, v204                              // 000000009F74: 69999838
	v_add_u32_e32 v205, 1, v204                                // 000000009F78: 699B9881
	v_add_u32_e32 v206, 2, v204                                // 000000009F7C: 699D9882
	v_add_u32_e32 v207, 3, v204                                // 000000009F80: 699F9883
	v_mov_b32_e32 v35, 0xff800000                              // 000000009F84: 7E4602FF FF800000
	v_cmp_lt_u32_e64 s[36:37], v204, v36                       // 000000009F8C: D0C90024 000249CC
	v_add_u32_e32 v204, 8, v204                                // 000000009F94: 69999888
	s_nop 0                                                    // 000000009F98: BF800000
	v_cndmask_b32_e64 v44, v35, v44, s[36:37]                  // 000000009F9C: D100002C 00925923
	v_cmp_lt_u32_e64 s[36:37], v205, v36                       // 000000009FA4: D0C90024 000249CD
	v_add_u32_e32 v205, 8, v205                                // 000000009FAC: 699B9A88
	s_nop 0                                                    // 000000009FB0: BF800000
	v_cndmask_b32_e64 v45, v35, v45, s[36:37]                  // 000000009FB4: D100002D 00925B23
	v_cmp_lt_u32_e64 s[36:37], v206, v36                       // 000000009FBC: D0C90024 000249CE
	v_add_u32_e32 v206, 8, v206                                // 000000009FC4: 699D9C88
	s_nop 0                                                    // 000000009FC8: BF800000
	v_cndmask_b32_e64 v46, v35, v46, s[36:37]                  // 000000009FCC: D100002E 00925D23
	v_cmp_lt_u32_e64 s[36:37], v207, v36                       // 000000009FD4: D0C90024 000249CF
	v_add_u32_e32 v207, 8, v207                                // 000000009FDC: 699F9E88
	s_nop 0                                                    // 000000009FE0: BF800000
	v_cndmask_b32_e64 v47, v35, v47, s[36:37]                  // 000000009FE4: D100002F 00925F23
	v_cmp_lt_u32_e64 s[36:37], v204, v36                       // 000000009FEC: D0C90024 000249CC
	v_add_u32_e32 v204, 8, v204                                // 000000009FF4: 69999888
	s_nop 0                                                    // 000000009FF8: BF800000
	v_cndmask_b32_e64 v48, v35, v48, s[36:37]                  // 000000009FFC: D1000030 00926123
	v_cmp_lt_u32_e64 s[36:37], v205, v36                       // 00000000A004: D0C90024 000249CD
	v_add_u32_e32 v205, 8, v205                                // 00000000A00C: 699B9A88
	s_nop 0                                                    // 00000000A010: BF800000
	v_cndmask_b32_e64 v49, v35, v49, s[36:37]                  // 00000000A014: D1000031 00926323
	v_cmp_lt_u32_e64 s[36:37], v206, v36                       // 00000000A01C: D0C90024 000249CE
	v_add_u32_e32 v206, 8, v206                                // 00000000A024: 699D9C88
	s_nop 0                                                    // 00000000A028: BF800000
	v_cndmask_b32_e64 v50, v35, v50, s[36:37]                  // 00000000A02C: D1000032 00926523
	v_cmp_lt_u32_e64 s[36:37], v207, v36                       // 00000000A034: D0C90024 000249CF
	v_add_u32_e32 v207, 8, v207                                // 00000000A03C: 699F9E88
	s_nop 0                                                    // 00000000A040: BF800000
	v_cndmask_b32_e64 v51, v35, v51, s[36:37]                  // 00000000A044: D1000033 00926723
	v_cmp_lt_u32_e64 s[36:37], v204, v36                       // 00000000A04C: D0C90024 000249CC
	v_add_u32_e32 v204, 8, v204                                // 00000000A054: 69999888
	s_nop 0                                                    // 00000000A058: BF800000
	v_cndmask_b32_e64 v52, v35, v52, s[36:37]                  // 00000000A05C: D1000034 00926923
	v_cmp_lt_u32_e64 s[36:37], v205, v36                       // 00000000A064: D0C90024 000249CD
	v_add_u32_e32 v205, 8, v205                                // 00000000A06C: 699B9A88
	s_nop 0                                                    // 00000000A070: BF800000
	v_cndmask_b32_e64 v53, v35, v53, s[36:37]                  // 00000000A074: D1000035 00926B23
	v_cmp_lt_u32_e64 s[36:37], v206, v36                       // 00000000A07C: D0C90024 000249CE
	v_add_u32_e32 v206, 8, v206                                // 00000000A084: 699D9C88
	s_nop 0                                                    // 00000000A088: BF800000
	v_cndmask_b32_e64 v54, v35, v54, s[36:37]                  // 00000000A08C: D1000036 00926D23
	v_cmp_lt_u32_e64 s[36:37], v207, v36                       // 00000000A094: D0C90024 000249CF
	v_add_u32_e32 v207, 8, v207                                // 00000000A09C: 699F9E88
	s_nop 0                                                    // 00000000A0A0: BF800000
	v_cndmask_b32_e64 v55, v35, v55, s[36:37]                  // 00000000A0A4: D1000037 00926F23
	v_cmp_lt_u32_e64 s[36:37], v204, v36                       // 00000000A0AC: D0C90024 000249CC
	v_add_u32_e32 v204, 8, v204                                // 00000000A0B4: 69999888
	s_nop 0                                                    // 00000000A0B8: BF800000
	v_cndmask_b32_e64 v56, v35, v56, s[36:37]                  // 00000000A0BC: D1000038 00927123
	v_cmp_lt_u32_e64 s[36:37], v205, v36                       // 00000000A0C4: D0C90024 000249CD
	v_add_u32_e32 v205, 8, v205                                // 00000000A0CC: 699B9A88
	s_nop 0                                                    // 00000000A0D0: BF800000
	v_cndmask_b32_e64 v57, v35, v57, s[36:37]                  // 00000000A0D4: D1000039 00927323
	v_cmp_lt_u32_e64 s[36:37], v206, v36                       // 00000000A0DC: D0C90024 000249CE
	v_add_u32_e32 v206, 8, v206                                // 00000000A0E4: 699D9C88
	s_nop 0                                                    // 00000000A0E8: BF800000
	v_cndmask_b32_e64 v58, v35, v58, s[36:37]                  // 00000000A0EC: D100003A 00927523
	v_cmp_lt_u32_e64 s[36:37], v207, v36                       // 00000000A0F4: D0C90024 000249CF
	v_add_u32_e32 v207, 8, v207                                // 00000000A0FC: 699F9E88
	s_nop 0                                                    // 00000000A100: BF800000
	v_cndmask_b32_e64 v59, v35, v59, s[36:37]                  // 00000000A104: D100003B 00927723
	s_nop 2                                                    // 00000000A10C: BF800002
	v_mov_b32_e32 v213, v44                                    // 00000000A110: 7FAA032C
	v_max3_f32 v213, v44, v45, v213                            // 00000000A114: D1D300D5 07565B2C
	v_max3_f32 v213, v46, v47, v213                            // 00000000A11C: D1D300D5 07565F2E
	v_max3_f32 v213, v48, v49, v213                            // 00000000A124: D1D300D5 07566330
	v_max3_f32 v213, v50, v51, v213                            // 00000000A12C: D1D300D5 07566732
	v_max3_f32 v213, v52, v53, v213                            // 00000000A134: D1D300D5 07566B34
	v_max3_f32 v213, v54, v55, v213                            // 00000000A13C: D1D300D5 07566F36
	v_max3_f32 v213, v56, v57, v213                            // 00000000A144: D1D300D5 07567338
	v_max3_f32 v213, v58, v59, v213                            // 00000000A14C: D1D300D5 0756773A
	v_mov_b32_e32 v35, v213                                    // 00000000A154: 7E4603D5
	v_mov_b32_e32 v36, v213                                    // 00000000A158: 7E4803D5
	s_nop 1                                                    // 00000000A15C: BF800001
	v_permlane32_swap_b32_e32 v35, v36                         // 00000000A160: 7E46B524
	v_max3_f32 v213, v35, v36, v213                            // 00000000A164: D1D300D5 07564923
	ds_write_b32 v41, v213                                     // 00000000A16C: D81A0000 0000D529
	s_waitcnt lgkmcnt(0)                                       // 00000000A174: BF8CC07F
	s_barrier                                                  // 00000000A178: BF8A0000
	ds_read_b32 v35, v40                                       // 00000000A17C: D86C0000 23000028
	ds_read_b32 v36, v40 offset:256                            // 00000000A184: D86C0100 24000028
	s_waitcnt lgkmcnt(0)                                       // 00000000A18C: BF8CC07F
	v_max3_f32 v213, v35, v36, v213                            // 00000000A190: D1D300D5 07564923
	v_mov_b32_e32 v35, 0xff800000                              // 00000000A198: 7E4602FF FF800000
	v_cmp_eq_u32_e64 s[36:37], v35, v2                         // 00000000A1A0: D0CA0024 00020523
	v_max_f32_e32 v216, v213, v2                               // 00000000A1A8: 17B005D5
	v_sub_f32_e32 v21, v2, v216                                // 00000000A1AC: 042BB102
	v_cndmask_b32_e64 v21, v21, 0, s[36:37]                    // 00000000A1B0: D1000015 00910115
	v_mov_b32_e32 v2, v216                                     // 00000000A1B8: 7E0403D8
	v_mul_f32_e32 v212, s5, v216                               // 00000000A1BC: 0BA9B005
	v_mul_f32_e32 v21, s5, v21                                 // 00000000A1C0: 0A2A2A05
	v_exp_f32_e32 v21, v21                                     // 00000000A1C4: 7E2A4115
	v_fma_f32 v44, v44, s5, -v212                              // 00000000A1C8: D1CB002C 87500B2C
	v_fma_f32 v45, v45, s5, -v212                              // 00000000A1D0: D1CB002D 87500B2D
	v_fma_f32 v46, v46, s5, -v212                              // 00000000A1D8: D1CB002E 87500B2E
	v_fma_f32 v47, v47, s5, -v212                              // 00000000A1E0: D1CB002F 87500B2F
	v_fma_f32 v48, v48, s5, -v212                              // 00000000A1E8: D1CB0030 87500B30
	v_fma_f32 v49, v49, s5, -v212                              // 00000000A1F0: D1CB0031 87500B31
	v_fma_f32 v50, v50, s5, -v212                              // 00000000A1F8: D1CB0032 87500B32
	v_fma_f32 v51, v51, s5, -v212                              // 00000000A200: D1CB0033 87500B33
	v_fma_f32 v52, v52, s5, -v212                              // 00000000A208: D1CB0034 87500B34
	v_fma_f32 v53, v53, s5, -v212                              // 00000000A210: D1CB0035 87500B35
	v_fma_f32 v54, v54, s5, -v212                              // 00000000A218: D1CB0036 87500B36
	v_fma_f32 v55, v55, s5, -v212                              // 00000000A220: D1CB0037 87500B37
	v_fma_f32 v56, v56, s5, -v212                              // 00000000A228: D1CB0038 87500B38
	v_fma_f32 v57, v57, s5, -v212                              // 00000000A230: D1CB0039 87500B39
	v_fma_f32 v58, v58, s5, -v212                              // 00000000A238: D1CB003A 87500B3A
	v_fma_f32 v59, v59, s5, -v212                              // 00000000A240: D1CB003B 87500B3B
	v_mov_b32_e32 v35, 0xffc00000                              // 00000000A248: 7E4602FF FFC00000
	v_exp_f32_e32 v44, v44                                     // 00000000A250: 7E58412C
	v_exp_f32_e32 v45, v45                                     // 00000000A254: 7E5A412D
	v_exp_f32_e32 v46, v46                                     // 00000000A258: 7E5C412E
	v_exp_f32_e32 v47, v47                                     // 00000000A25C: 7E5E412F
	v_exp_f32_e32 v48, v48                                     // 00000000A260: 7E604130
	v_exp_f32_e32 v49, v49                                     // 00000000A264: 7E624131
	v_exp_f32_e32 v50, v50                                     // 00000000A268: 7E644132
	v_exp_f32_e32 v51, v51                                     // 00000000A26C: 7E664133
	v_exp_f32_e32 v52, v52                                     // 00000000A270: 7E684134
	v_exp_f32_e32 v53, v53                                     // 00000000A274: 7E6A4135
	v_exp_f32_e32 v54, v54                                     // 00000000A278: 7E6C4136
	v_exp_f32_e32 v55, v55                                     // 00000000A27C: 7E6E4137
	v_exp_f32_e32 v56, v56                                     // 00000000A280: 7E704138
	v_exp_f32_e32 v57, v57                                     // 00000000A284: 7E724139
	v_exp_f32_e32 v58, v58                                     // 00000000A288: 7E74413A
	v_exp_f32_e32 v59, v59                                     // 00000000A28C: 7E76413B
	v_mul_f32_e32 v4, v21, v4                                  // 00000000A290: 0A080915
	v_mov_b32_e32 v35, v44                                     // 00000000A294: 7E46032C
	v_add_f32_e32 v35, v45, v35                                // 00000000A298: 0246472D
	v_add_f32_e32 v35, v46, v35                                // 00000000A29C: 0246472E
	v_add_f32_e32 v35, v47, v35                                // 00000000A2A0: 0246472F
	v_add_f32_e32 v35, v48, v35                                // 00000000A2A4: 02464730
	v_add_f32_e32 v35, v49, v35                                // 00000000A2A8: 02464731
	v_add_f32_e32 v35, v50, v35                                // 00000000A2AC: 02464732
	v_add_f32_e32 v35, v51, v35                                // 00000000A2B0: 02464733
	v_add_f32_e32 v35, v52, v35                                // 00000000A2B4: 02464734
	v_add_f32_e32 v35, v53, v35                                // 00000000A2B8: 02464735
	v_add_f32_e32 v35, v54, v35                                // 00000000A2BC: 02464736
	v_add_f32_e32 v35, v55, v35                                // 00000000A2C0: 02464737
	v_add_f32_e32 v35, v56, v35                                // 00000000A2C4: 02464738
	v_add_f32_e32 v35, v57, v35                                // 00000000A2C8: 02464739
	v_add_f32_e32 v35, v58, v35                                // 00000000A2CC: 0246473A
	v_add_f32_e32 v35, v59, v35                                // 00000000A2D0: 0246473B
	v_add_f32_e32 v4, v35, v4                                  // 00000000A2D4: 02080923
	v_cvt_pk_fp8_f32 v44, v44, v45                             // 00000000A2D8: D2A2002C 00025B2C
	v_cvt_pk_fp8_f32 v44, v46, v47 op_sel:[0,0,1]              // 00000000A2E0: D2A2402C 00025F2E
	v_cvt_pk_fp8_f32 v45, v48, v49                             // 00000000A2E8: D2A2002D 00026330
	v_cvt_pk_fp8_f32 v45, v50, v51 op_sel:[0,0,1]              // 00000000A2F0: D2A2402D 00026732
	v_cvt_pk_fp8_f32 v46, v52, v53                             // 00000000A2F8: D2A2002E 00026B34
	v_cvt_pk_fp8_f32 v46, v54, v55 op_sel:[0,0,1]              // 00000000A300: D2A2402E 00026F36
	v_cvt_pk_fp8_f32 v47, v56, v57                             // 00000000A308: D2A2002F 00027338
	v_cvt_pk_fp8_f32 v47, v58, v59 op_sel:[0,0,1]              // 00000000A310: D2A2402F 0002773A
	ds_write_b128 v43, v[44:47] offset:1024                    // 00000000A318: D9BE0400 00002C2B
	s_waitcnt lgkmcnt(0)                                       // 00000000A320: BF8CC07F
	s_barrier                                                  // 00000000A324: BF8A0000
	ds_read_b128 v[44:47], v42 offset:1024                     // 00000000A328: D9FE0400 2C00002A
	ds_read_b128 v[48:51], v42 offset:2048                     // 00000000A330: D9FE0800 3000002A
	s_waitcnt lgkmcnt(0)                                       // 00000000A338: BF8CC07F
	v_permlane32_swap_b32_e32 v44, v46                         // 00000000A33C: 7E58B52E
	v_permlane32_swap_b32_e32 v45, v47                         // 00000000A340: 7E5AB52F
	v_swap_b32 v45, v46                                        // 00000000A344: 7E5AA32E
	v_permlane32_swap_b32_e32 v48, v50                         // 00000000A348: 7E60B532
	v_permlane32_swap_b32_e32 v49, v51                         // 00000000A34C: 7E62B533
	v_swap_b32 v49, v50                                        // 00000000A350: 7E62A332
	v_mov_b32_e32 v36, v21                                     // 00000000A354: 7E480315
	v_mov_b32_e32 v37, v21                                     // 00000000A358: 7E4A0315
	v_pk_mul_f32 v[76:77], v[36:37], v[76:77]                  // 00000000A35C: D3B1404C 18029924
	v_pk_mul_f32 v[78:79], v[36:37], v[78:79]                  // 00000000A364: D3B1404E 18029D24
	v_pk_mul_f32 v[80:81], v[36:37], v[80:81]                  // 00000000A36C: D3B14050 1802A124
	v_pk_mul_f32 v[82:83], v[36:37], v[82:83]                  // 00000000A374: D3B14052 1802A524
	v_pk_mul_f32 v[84:85], v[36:37], v[84:85]                  // 00000000A37C: D3B14054 1802A924
	v_pk_mul_f32 v[86:87], v[36:37], v[86:87]                  // 00000000A384: D3B14056 1802AD24
	v_pk_mul_f32 v[88:89], v[36:37], v[88:89]                  // 00000000A38C: D3B14058 1802B124
	v_pk_mul_f32 v[90:91], v[36:37], v[90:91]                  // 00000000A394: D3B1405A 1802B524
	v_pk_mul_f32 v[92:93], v[36:37], v[92:93]                  // 00000000A39C: D3B1405C 1802B924
	v_pk_mul_f32 v[94:95], v[36:37], v[94:95]                  // 00000000A3A4: D3B1405E 1802BD24
	v_pk_mul_f32 v[96:97], v[36:37], v[96:97]                  // 00000000A3AC: D3B14060 1802C124
	v_pk_mul_f32 v[98:99], v[36:37], v[98:99]                  // 00000000A3B4: D3B14062 1802C524
	v_pk_mul_f32 v[100:101], v[36:37], v[100:101]              // 00000000A3BC: D3B14064 1802C924
	v_pk_mul_f32 v[102:103], v[36:37], v[102:103]              // 00000000A3C4: D3B14066 1802CD24
	v_pk_mul_f32 v[104:105], v[36:37], v[104:105]              // 00000000A3CC: D3B14068 1802D124
	v_pk_mul_f32 v[106:107], v[36:37], v[106:107]              // 00000000A3D4: D3B1406A 1802D524
	v_pk_mul_f32 v[108:109], v[36:37], v[108:109]              // 00000000A3DC: D3B1406C 1802D924
	v_pk_mul_f32 v[110:111], v[36:37], v[110:111]              // 00000000A3E4: D3B1406E 1802DD24
	v_pk_mul_f32 v[112:113], v[36:37], v[112:113]              // 00000000A3EC: D3B14070 1802E124
	v_pk_mul_f32 v[114:115], v[36:37], v[114:115]              // 00000000A3F4: D3B14072 1802E524
	v_pk_mul_f32 v[116:117], v[36:37], v[116:117]              // 00000000A3FC: D3B14074 1802E924
	v_pk_mul_f32 v[118:119], v[36:37], v[118:119]              // 00000000A404: D3B14076 1802ED24
	v_pk_mul_f32 v[120:121], v[36:37], v[120:121]              // 00000000A40C: D3B14078 1802F124
	v_pk_mul_f32 v[122:123], v[36:37], v[122:123]              // 00000000A414: D3B1407A 1802F524
	v_pk_mul_f32 v[124:125], v[36:37], v[124:125]              // 00000000A41C: D3B1407C 1802F924
	v_pk_mul_f32 v[126:127], v[36:37], v[126:127]              // 00000000A424: D3B1407E 1802FD24
	v_pk_mul_f32 v[128:129], v[36:37], v[128:129]              // 00000000A42C: D3B14080 18030124
	v_pk_mul_f32 v[130:131], v[36:37], v[130:131]              // 00000000A434: D3B14082 18030524
	v_pk_mul_f32 v[132:133], v[36:37], v[132:133]              // 00000000A43C: D3B14084 18030924
	v_pk_mul_f32 v[134:135], v[36:37], v[134:135]              // 00000000A444: D3B14086 18030D24
	v_pk_mul_f32 v[136:137], v[36:37], v[136:137]              // 00000000A44C: D3B14088 18031124
	v_pk_mul_f32 v[138:139], v[36:37], v[138:139]              // 00000000A454: D3B1408A 18031524
	v_pk_mul_f32 v[140:141], v[36:37], v[140:141]              // 00000000A45C: D3B1408C 18031924
	v_pk_mul_f32 v[142:143], v[36:37], v[142:143]              // 00000000A464: D3B1408E 18031D24
	v_pk_mul_f32 v[144:145], v[36:37], v[144:145]              // 00000000A46C: D3B14090 18032124
	v_pk_mul_f32 v[146:147], v[36:37], v[146:147]              // 00000000A474: D3B14092 18032524
	v_pk_mul_f32 v[148:149], v[36:37], v[148:149]              // 00000000A47C: D3B14094 18032924
	v_pk_mul_f32 v[150:151], v[36:37], v[150:151]              // 00000000A484: D3B14096 18032D24
	v_pk_mul_f32 v[152:153], v[36:37], v[152:153]              // 00000000A48C: D3B14098 18033124
	v_pk_mul_f32 v[154:155], v[36:37], v[154:155]              // 00000000A494: D3B1409A 18033524
	v_pk_mul_f32 v[156:157], v[36:37], v[156:157]              // 00000000A49C: D3B1409C 18033924
	v_pk_mul_f32 v[158:159], v[36:37], v[158:159]              // 00000000A4A4: D3B1409E 18033D24
	v_pk_mul_f32 v[160:161], v[36:37], v[160:161]              // 00000000A4AC: D3B140A0 18034124
	v_pk_mul_f32 v[162:163], v[36:37], v[162:163]              // 00000000A4B4: D3B140A2 18034524
	v_pk_mul_f32 v[164:165], v[36:37], v[164:165]              // 00000000A4BC: D3B140A4 18034924
	v_pk_mul_f32 v[166:167], v[36:37], v[166:167]              // 00000000A4C4: D3B140A6 18034D24
	v_pk_mul_f32 v[168:169], v[36:37], v[168:169]              // 00000000A4CC: D3B140A8 18035124
	v_pk_mul_f32 v[170:171], v[36:37], v[170:171]              // 00000000A4D4: D3B140AA 18035524
	v_pk_mul_f32 v[172:173], v[36:37], v[172:173]              // 00000000A4DC: D3B140AC 18035924
	v_pk_mul_f32 v[174:175], v[36:37], v[174:175]              // 00000000A4E4: D3B140AE 18035D24
	v_pk_mul_f32 v[176:177], v[36:37], v[176:177]              // 00000000A4EC: D3B140B0 18036124
	v_pk_mul_f32 v[178:179], v[36:37], v[178:179]              // 00000000A4F4: D3B140B2 18036524
	v_pk_mul_f32 v[180:181], v[36:37], v[180:181]              // 00000000A4FC: D3B140B4 18036924
	v_pk_mul_f32 v[182:183], v[36:37], v[182:183]              // 00000000A504: D3B140B6 18036D24
	v_pk_mul_f32 v[184:185], v[36:37], v[184:185]              // 00000000A50C: D3B140B8 18037124
	v_pk_mul_f32 v[186:187], v[36:37], v[186:187]              // 00000000A514: D3B140BA 18037524
	v_pk_mul_f32 v[188:189], v[36:37], v[188:189]              // 00000000A51C: D3B140BC 18037924
	v_pk_mul_f32 v[190:191], v[36:37], v[190:191]              // 00000000A524: D3B140BE 18037D24
	v_pk_mul_f32 v[192:193], v[36:37], v[192:193]              // 00000000A52C: D3B140C0 18038124
	v_pk_mul_f32 v[194:195], v[36:37], v[194:195]              // 00000000A534: D3B140C2 18038524
	v_pk_mul_f32 v[196:197], v[36:37], v[196:197]              // 00000000A53C: D3B140C4 18038924
	v_pk_mul_f32 v[198:199], v[36:37], v[198:199]              // 00000000A544: D3B140C6 18038D24
	v_pk_mul_f32 v[200:201], v[36:37], v[200:201]              // 00000000A54C: D3B140C8 18039124
	v_pk_mul_f32 v[202:203], v[36:37], v[202:203]              // 00000000A554: D3B140CA 18039524
	v_mfma_f32_32x32x64_f8f6f4 v[76:91], a[72:79], v[44:51], v[76:91]// 00000000A55C: D3AE004C 0D325948
	v_mfma_f32_32x32x64_f8f6f4 v[92:107], a[80:87], v[44:51], v[92:107]// 00000000A564: D3AE005C 0D725950
	v_mfma_f32_32x32x64_f8f6f4 v[108:123], a[88:95], v[44:51], v[108:123]// 00000000A56C: D3AE006C 0DB25958
	v_mfma_f32_32x32x64_f8f6f4 v[124:139], a[96:103], v[44:51], v[124:139]// 00000000A574: D3AE007C 0DF25960
	v_mfma_f32_32x32x64_f8f6f4 v[140:155], a[104:111], v[44:51], v[140:155]// 00000000A57C: D3AE008C 0E325968
	v_mfma_f32_32x32x64_f8f6f4 v[156:171], a[112:119], v[44:51], v[156:171]// 00000000A584: D3AE009C 0E725970
	v_mfma_f32_32x32x64_f8f6f4 v[172:187], a[120:127], v[44:51], v[172:187]// 00000000A58C: D3AE00AC 0EB25978
	v_mfma_f32_32x32x64_f8f6f4 v[188:203], a[128:135], v[44:51], v[188:203]// 00000000A594: D3AE00BC 0EF25980
	s_nop 8                                                    // 00000000A59C: BF800008
	s_branch label_82A4                                        // 00000000A5A0: BF820000

000000000000a5a4 <label_82A4>:
	ds_write_b32 v41, v4                                       // 00000000A5A4: D81A0000 00000429
	s_waitcnt lgkmcnt(0)                                       // 00000000A5AC: BF8CC07F
	s_barrier                                                  // 00000000A5B0: BF8A0000
	ds_read_b32 v35, v40                                       // 00000000A5B4: D86C0000 23000028
	ds_read_b32 v37, v40 offset:256                            // 00000000A5BC: D86C0100 25000028
	s_waitcnt lgkmcnt(0)                                       // 00000000A5C4: BF8CC07F
	v_mov_b32_e32 v36, v35                                     // 00000000A5C8: 7E480323
	v_mov_b32_e32 v38, v37                                     // 00000000A5CC: 7E4C0325
	s_nop 0                                                    // 00000000A5D0: BF800000
	v_permlane32_swap_b32_e32 v35, v36                         // 00000000A5D4: 7E46B524
	v_permlane32_swap_b32_e32 v37, v38                         // 00000000A5D8: 7E4AB526
	v_mov_b32_e32 v4, 0                                        // 00000000A5DC: 7E080280
	v_add_f32_e32 v4, v35, v4                                  // 00000000A5E0: 02080923
	v_add_f32_e32 v4, v36, v4                                  // 00000000A5E4: 02080924
	v_add_f32_e32 v4, v37, v4                                  // 00000000A5E8: 02080925
	v_add_f32_e32 v4, v38, v4                                  // 00000000A5EC: 02080926
	v_mov_b32_e32 v35, 0                                       // 00000000A5F0: 7E460280
	v_cmp_eq_u32_e64 s[36:37], v35, v4                         // 00000000A5F4: D0CA0024 00020923
	v_mul_f32_e64 v35, v2, s64                                 // 00000000A5FC: D1050023 00008102
	v_log_f32_e32 v36, v4                                      // 00000000A604: 7E484304
	s_nop 1                                                    // 00000000A608: BF800001
	v_rcp_f32_e32 v4, v4                                       // 00000000A60C: 7E084504
	s_nop 1                                                    // 00000000A610: BF800001
	v_fma_f32 v218, v36, s63, v35                              // 00000000A614: D1CB00DA 048C7F24
	v_mul_f32_e32 v4, s61, v4                                  // 00000000A61C: 0A08083D
	v_mov_b32_e32 v44, v4                                      // 00000000A620: 7E580304
	v_mov_b32_e32 v45, v4                                      // 00000000A624: 7E5A0304
	v_pk_mul_f32 v[76:77], v[44:45], v[76:77]                  // 00000000A628: D3B1404C 1802992C
	v_pk_mul_f32 v[78:79], v[44:45], v[78:79]                  // 00000000A630: D3B1404E 18029D2C
	v_pk_mul_f32 v[80:81], v[44:45], v[80:81]                  // 00000000A638: D3B14050 1802A12C
	v_pk_mul_f32 v[82:83], v[44:45], v[82:83]                  // 00000000A640: D3B14052 1802A52C
	v_pk_mul_f32 v[84:85], v[44:45], v[84:85]                  // 00000000A648: D3B14054 1802A92C
	v_pk_mul_f32 v[86:87], v[44:45], v[86:87]                  // 00000000A650: D3B14056 1802AD2C
	v_pk_mul_f32 v[88:89], v[44:45], v[88:89]                  // 00000000A658: D3B14058 1802B12C
	v_pk_mul_f32 v[90:91], v[44:45], v[90:91]                  // 00000000A660: D3B1405A 1802B52C
	v_pk_mul_f32 v[92:93], v[44:45], v[92:93]                  // 00000000A668: D3B1405C 1802B92C
	v_pk_mul_f32 v[94:95], v[44:45], v[94:95]                  // 00000000A670: D3B1405E 1802BD2C
	v_pk_mul_f32 v[96:97], v[44:45], v[96:97]                  // 00000000A678: D3B14060 1802C12C
	v_pk_mul_f32 v[98:99], v[44:45], v[98:99]                  // 00000000A680: D3B14062 1802C52C
	v_pk_mul_f32 v[100:101], v[44:45], v[100:101]              // 00000000A688: D3B14064 1802C92C
	v_pk_mul_f32 v[102:103], v[44:45], v[102:103]              // 00000000A690: D3B14066 1802CD2C
	v_pk_mul_f32 v[104:105], v[44:45], v[104:105]              // 00000000A698: D3B14068 1802D12C
	v_pk_mul_f32 v[106:107], v[44:45], v[106:107]              // 00000000A6A0: D3B1406A 1802D52C
	v_pk_mul_f32 v[108:109], v[44:45], v[108:109]              // 00000000A6A8: D3B1406C 1802D92C
	v_pk_mul_f32 v[110:111], v[44:45], v[110:111]              // 00000000A6B0: D3B1406E 1802DD2C
	v_pk_mul_f32 v[112:113], v[44:45], v[112:113]              // 00000000A6B8: D3B14070 1802E12C
	v_pk_mul_f32 v[114:115], v[44:45], v[114:115]              // 00000000A6C0: D3B14072 1802E52C
	v_pk_mul_f32 v[116:117], v[44:45], v[116:117]              // 00000000A6C8: D3B14074 1802E92C
	v_pk_mul_f32 v[118:119], v[44:45], v[118:119]              // 00000000A6D0: D3B14076 1802ED2C
	v_pk_mul_f32 v[120:121], v[44:45], v[120:121]              // 00000000A6D8: D3B14078 1802F12C
	v_pk_mul_f32 v[122:123], v[44:45], v[122:123]              // 00000000A6E0: D3B1407A 1802F52C
	v_pk_mul_f32 v[124:125], v[44:45], v[124:125]              // 00000000A6E8: D3B1407C 1802F92C
	v_pk_mul_f32 v[126:127], v[44:45], v[126:127]              // 00000000A6F0: D3B1407E 1802FD2C
	v_pk_mul_f32 v[128:129], v[44:45], v[128:129]              // 00000000A6F8: D3B14080 1803012C
	v_pk_mul_f32 v[130:131], v[44:45], v[130:131]              // 00000000A700: D3B14082 1803052C
	v_pk_mul_f32 v[132:133], v[44:45], v[132:133]              // 00000000A708: D3B14084 1803092C
	v_pk_mul_f32 v[134:135], v[44:45], v[134:135]              // 00000000A710: D3B14086 18030D2C
	v_pk_mul_f32 v[136:137], v[44:45], v[136:137]              // 00000000A718: D3B14088 1803112C
	v_pk_mul_f32 v[138:139], v[44:45], v[138:139]              // 00000000A720: D3B1408A 1803152C
	v_pk_mul_f32 v[140:141], v[44:45], v[140:141]              // 00000000A728: D3B1408C 1803192C
	v_pk_mul_f32 v[142:143], v[44:45], v[142:143]              // 00000000A730: D3B1408E 18031D2C
	v_pk_mul_f32 v[144:145], v[44:45], v[144:145]              // 00000000A738: D3B14090 1803212C
	v_pk_mul_f32 v[146:147], v[44:45], v[146:147]              // 00000000A740: D3B14092 1803252C
	v_pk_mul_f32 v[148:149], v[44:45], v[148:149]              // 00000000A748: D3B14094 1803292C
	v_pk_mul_f32 v[150:151], v[44:45], v[150:151]              // 00000000A750: D3B14096 18032D2C
	v_pk_mul_f32 v[152:153], v[44:45], v[152:153]              // 00000000A758: D3B14098 1803312C
	v_pk_mul_f32 v[154:155], v[44:45], v[154:155]              // 00000000A760: D3B1409A 1803352C
	v_pk_mul_f32 v[156:157], v[44:45], v[156:157]              // 00000000A768: D3B1409C 1803392C
	v_pk_mul_f32 v[158:159], v[44:45], v[158:159]              // 00000000A770: D3B1409E 18033D2C
	v_pk_mul_f32 v[160:161], v[44:45], v[160:161]              // 00000000A778: D3B140A0 1803412C
	v_pk_mul_f32 v[162:163], v[44:45], v[162:163]              // 00000000A780: D3B140A2 1803452C
	v_pk_mul_f32 v[164:165], v[44:45], v[164:165]              // 00000000A788: D3B140A4 1803492C
	v_pk_mul_f32 v[166:167], v[44:45], v[166:167]              // 00000000A790: D3B140A6 18034D2C
	v_pk_mul_f32 v[168:169], v[44:45], v[168:169]              // 00000000A798: D3B140A8 1803512C
	v_pk_mul_f32 v[170:171], v[44:45], v[170:171]              // 00000000A7A0: D3B140AA 1803552C
	v_pk_mul_f32 v[172:173], v[44:45], v[172:173]              // 00000000A7A8: D3B140AC 1803592C
	v_pk_mul_f32 v[174:175], v[44:45], v[174:175]              // 00000000A7B0: D3B140AE 18035D2C
	v_pk_mul_f32 v[176:177], v[44:45], v[176:177]              // 00000000A7B8: D3B140B0 1803612C
	v_pk_mul_f32 v[178:179], v[44:45], v[178:179]              // 00000000A7C0: D3B140B2 1803652C
	v_pk_mul_f32 v[180:181], v[44:45], v[180:181]              // 00000000A7C8: D3B140B4 1803692C
	v_pk_mul_f32 v[182:183], v[44:45], v[182:183]              // 00000000A7D0: D3B140B6 18036D2C
	v_pk_mul_f32 v[184:185], v[44:45], v[184:185]              // 00000000A7D8: D3B140B8 1803712C
	v_pk_mul_f32 v[186:187], v[44:45], v[186:187]              // 00000000A7E0: D3B140BA 1803752C
	v_pk_mul_f32 v[188:189], v[44:45], v[188:189]              // 00000000A7E8: D3B140BC 1803792C
	v_pk_mul_f32 v[190:191], v[44:45], v[190:191]              // 00000000A7F0: D3B140BE 18037D2C
	v_pk_mul_f32 v[192:193], v[44:45], v[192:193]              // 00000000A7F8: D3B140C0 1803812C
	v_pk_mul_f32 v[194:195], v[44:45], v[194:195]              // 00000000A800: D3B140C2 1803852C
	v_pk_mul_f32 v[196:197], v[44:45], v[196:197]              // 00000000A808: D3B140C4 1803892C
	v_pk_mul_f32 v[198:199], v[44:45], v[198:199]              // 00000000A810: D3B140C6 18038D2C
	v_pk_mul_f32 v[200:201], v[44:45], v[200:201]              // 00000000A818: D3B140C8 1803912C
	v_pk_mul_f32 v[202:203], v[44:45], v[202:203]              // 00000000A820: D3B140CA 1803952C
	s_cmp_lt_i32 s87, 0                                        // 00000000A828: BF048057
	s_cbranch_scc1 label_8D24                                  // 00000000A82C: BF8501FD
	s_mul_i32 s75, 0x800, 8                                    // 00000000A830: 924B88FF 00000800
	s_mul_i32 s56, s87, s75                                    // 00000000A838: 92384B57
	s_add_u32 s8, s56, s8                                      // 00000000A83C: 80080838
	s_addc_u32 s9, 0, s9                                       // 00000000A840: 82090980
	s_mul_i32 s56, s75, s81                                    // 00000000A844: 9238514B
	s_mov_b32 s10, s56                                         // 00000000A848: BE8A0038
	s_mov_b32 s57, 0x10000                                     // 00000000A84C: BEB900FF 00010000
	s_lshr_b32 s56, s7, 1                                      // 00000000A854: 8F388107
	s_mul_i32 s56, s56, s57                                    // 00000000A858: 92383938
	s_mov_b32 s58, 0x400                                       // 00000000A85C: BEBA00FF 00000400
	s_and_b32 s57, 1, s7                                       // 00000000A864: 86390781
	s_mul_i32 s57, s57, s58                                    // 00000000A868: 92393A39
	s_add_u32 s56, s56, s57                                    // 00000000A86C: 80383938
	v_lshrrev_b32_e32 v219, 2, v0                              // 00000000A870: 21B60082
	s_mov_b32 s57, 0x800                                       // 00000000A874: BEB900FF 00000800
	v_mul_i32_i24_e32 v219, s57, v219                          // 00000000A87C: 0DB7B639
	v_and_b32_e32 v35, 3, v0                                   // 00000000A880: 26460083
	v_lshlrev_b32_e32 v35, 4, v35                              // 00000000A884: 24464684
	v_add_u32_e32 v219, v35, v219                              // 00000000A888: 69B7B723
	v_add_u32_e32 v219, s56, v219                              // 00000000A88C: 69B7B638
	s_mov_b32 s57, 0x8000                                      // 00000000A890: BEB900FF 00008000
	v_add_u32_e32 v220, s57, v219                              // 00000000A898: 69B9B639
	s_mul_i32 s57, 4, 8                                        // 00000000A89C: 92398884
	s_mul_i32 s56, s87, s57                                    // 00000000A8A0: 92383957
	s_add_u32 s12, s56, s12                                    // 00000000A8A4: 800C0C38
	s_addc_u32 s13, 0, s13                                     // 00000000A8A8: 820D0D80
	s_mul_i32 s58, s57, s81                                    // 00000000A8AC: 923A5139
	s_mov_b32 s14, s58                                         // 00000000A8B0: BE8E003A
	v_and_b32_e32 v221, 31, v0                                 // 00000000A8B4: 27BA009F
	v_lshlrev_b32_e32 v221, 2, v221                            // 00000000A8B8: 25BBBA82
	s_mul_i32 s58, 4, 32                                       // 00000000A8BC: 923AA084
	s_lshr_b32 s56, s7, 1                                      // 00000000A8C0: 8F388107
	s_mul_i32 s56, s56, s58                                    // 00000000A8C4: 92383A38
	v_add_u32_e64 v221, v221, s56                              // 00000000A8C8: D13400DD 000071DD
	v_and_b32_e32 v35, 1, v0                                   // 00000000A8D0: 26460081
	v_lshlrev_b32_e32 v35, 5, v35                              // 00000000A8D4: 24464685
	v_and_b32_e32 v36, 3, v0                                   // 00000000A8D8: 26480083
	v_lshrrev_b32_e32 v36, 1, v36                              // 00000000A8DC: 20484881
	v_lshlrev_b32_e32 v36, 4, v36                              // 00000000A8E0: 24484884
	v_add_u32_e32 v35, v35, v36                                // 00000000A8E4: 68464923
	v_lshrrev_b32_e32 v36, 2, v0                               // 00000000A8E8: 20480082
	v_add_u32_e32 v35, v35, v36                                // 00000000A8EC: 68464923
	v_lshlrev_b32_e32 v35, 2, v35                              // 00000000A8F0: 24464682
	v_lshlrev_b32_e32 v37, 4, v0                               // 00000000A8F4: 244A0084
	v_permlane16_swap_b32_e32 v76, v80                         // 00000000A8F8: 7E98B350
	v_permlane16_swap_b32_e32 v77, v81                         // 00000000A8FC: 7E9AB351
	v_permlane16_swap_b32_e32 v78, v82                         // 00000000A900: 7E9CB352
	v_permlane16_swap_b32_e32 v79, v83                         // 00000000A904: 7E9EB353
	ds_bpermute_b32 v44, v35, v76                              // 00000000A908: D87E0000 2C004C23
	ds_bpermute_b32 v45, v35, v77                              // 00000000A910: D87E0000 2D004D23
	ds_bpermute_b32 v46, v35, v78                              // 00000000A918: D87E0000 2E004E23
	ds_bpermute_b32 v47, v35, v79                              // 00000000A920: D87E0000 2F004F23
	ds_bpermute_b32 v48, v35, v80                              // 00000000A928: D87E0000 30005023
	ds_bpermute_b32 v49, v35, v81                              // 00000000A930: D87E0000 31005123
	ds_bpermute_b32 v50, v35, v82                              // 00000000A938: D87E0000 32005223
	ds_bpermute_b32 v51, v35, v83                              // 00000000A940: D87E0000 33005323
	v_permlane16_swap_b32_e32 v84, v88                         // 00000000A948: 7EA8B358
	v_permlane16_swap_b32_e32 v85, v89                         // 00000000A94C: 7EAAB359
	v_permlane16_swap_b32_e32 v86, v90                         // 00000000A950: 7EACB35A
	v_permlane16_swap_b32_e32 v87, v91                         // 00000000A954: 7EAEB35B
	ds_bpermute_b32 v52, v35, v84                              // 00000000A958: D87E0000 34005423
	ds_bpermute_b32 v53, v35, v85                              // 00000000A960: D87E0000 35005523
	ds_bpermute_b32 v54, v35, v86                              // 00000000A968: D87E0000 36005623
	ds_bpermute_b32 v55, v35, v87                              // 00000000A970: D87E0000 37005723
	ds_bpermute_b32 v56, v35, v88                              // 00000000A978: D87E0000 38005823
	ds_bpermute_b32 v57, v35, v89                              // 00000000A980: D87E0000 39005923
	ds_bpermute_b32 v58, v35, v90                              // 00000000A988: D87E0000 3A005A23
	ds_bpermute_b32 v59, v35, v91                              // 00000000A990: D87E0000 3B005B23
	s_waitcnt lgkmcnt(12)                                      // 00000000A998: BF8CCC7F
	buffer_store_dwordx4 v[44:47], v219, s[8:11], 0 offen      // 00000000A99C: E07C1000 80022CDB
	s_waitcnt lgkmcnt(8)                                       // 00000000A9A4: BF8CC87F
	buffer_store_dwordx4 v[48:51], v220, s[8:11], 0 offen      // 00000000A9A8: E07C1000 800230DC
	s_mov_b32 s56, 64                                          // 00000000A9B0: BEB800C0
	v_add_u32_e32 v219, s56, v219                              // 00000000A9B4: 69B7B638
	v_add_u32_e32 v220, s56, v220                              // 00000000A9B8: 69B9B838
	s_waitcnt lgkmcnt(4)                                       // 00000000A9BC: BF8CC47F
	buffer_store_dwordx4 v[52:55], v219, s[8:11], 0 offen      // 00000000A9C0: E07C1000 800234DB
	s_waitcnt lgkmcnt(0)                                       // 00000000A9C8: BF8CC07F
	buffer_store_dwordx4 v[56:59], v220, s[8:11], 0 offen      // 00000000A9CC: E07C1000 800238DC
	v_add_u32_e32 v219, s56, v219                              // 00000000A9D4: 69B7B638
	v_add_u32_e32 v220, s56, v220                              // 00000000A9D8: 69B9B838
	v_permlane16_swap_b32_e32 v92, v96                         // 00000000A9DC: 7EB8B360
	v_permlane16_swap_b32_e32 v93, v97                         // 00000000A9E0: 7EBAB361
	v_permlane16_swap_b32_e32 v94, v98                         // 00000000A9E4: 7EBCB362
	v_permlane16_swap_b32_e32 v95, v99                         // 00000000A9E8: 7EBEB363
	ds_bpermute_b32 v44, v35, v92                              // 00000000A9EC: D87E0000 2C005C23
	ds_bpermute_b32 v45, v35, v93                              // 00000000A9F4: D87E0000 2D005D23
	ds_bpermute_b32 v46, v35, v94                              // 00000000A9FC: D87E0000 2E005E23
	ds_bpermute_b32 v47, v35, v95                              // 00000000AA04: D87E0000 2F005F23
	ds_bpermute_b32 v48, v35, v96                              // 00000000AA0C: D87E0000 30006023
	ds_bpermute_b32 v49, v35, v97                              // 00000000AA14: D87E0000 31006123
	ds_bpermute_b32 v50, v35, v98                              // 00000000AA1C: D87E0000 32006223
	ds_bpermute_b32 v51, v35, v99                              // 00000000AA24: D87E0000 33006323
	v_permlane16_swap_b32_e32 v100, v104                       // 00000000AA2C: 7EC8B368
	v_permlane16_swap_b32_e32 v101, v105                       // 00000000AA30: 7ECAB369
	v_permlane16_swap_b32_e32 v102, v106                       // 00000000AA34: 7ECCB36A
	v_permlane16_swap_b32_e32 v103, v107                       // 00000000AA38: 7ECEB36B
	ds_bpermute_b32 v52, v35, v100                             // 00000000AA3C: D87E0000 34006423
	ds_bpermute_b32 v53, v35, v101                             // 00000000AA44: D87E0000 35006523
	ds_bpermute_b32 v54, v35, v102                             // 00000000AA4C: D87E0000 36006623
	ds_bpermute_b32 v55, v35, v103                             // 00000000AA54: D87E0000 37006723
	ds_bpermute_b32 v56, v35, v104                             // 00000000AA5C: D87E0000 38006823
	ds_bpermute_b32 v57, v35, v105                             // 00000000AA64: D87E0000 39006923
	ds_bpermute_b32 v58, v35, v106                             // 00000000AA6C: D87E0000 3A006A23
	ds_bpermute_b32 v59, v35, v107                             // 00000000AA74: D87E0000 3B006B23
	s_waitcnt lgkmcnt(12)                                      // 00000000AA7C: BF8CCC7F
	buffer_store_dwordx4 v[44:47], v219, s[8:11], 0 offen      // 00000000AA80: E07C1000 80022CDB
	s_waitcnt lgkmcnt(8)                                       // 00000000AA88: BF8CC87F
	buffer_store_dwordx4 v[48:51], v220, s[8:11], 0 offen      // 00000000AA8C: E07C1000 800230DC
	s_mov_b32 s56, 64                                          // 00000000AA94: BEB800C0
	v_add_u32_e32 v219, s56, v219                              // 00000000AA98: 69B7B638
	v_add_u32_e32 v220, s56, v220                              // 00000000AA9C: 69B9B838
	s_waitcnt lgkmcnt(4)                                       // 00000000AAA0: BF8CC47F
	buffer_store_dwordx4 v[52:55], v219, s[8:11], 0 offen      // 00000000AAA4: E07C1000 800234DB
	s_waitcnt lgkmcnt(0)                                       // 00000000AAAC: BF8CC07F
	buffer_store_dwordx4 v[56:59], v220, s[8:11], 0 offen      // 00000000AAB0: E07C1000 800238DC
	v_add_u32_e32 v219, s56, v219                              // 00000000AAB8: 69B7B638
	v_add_u32_e32 v220, s56, v220                              // 00000000AABC: 69B9B838
	v_permlane16_swap_b32_e32 v108, v112                       // 00000000AAC0: 7ED8B370
	v_permlane16_swap_b32_e32 v109, v113                       // 00000000AAC4: 7EDAB371
	v_permlane16_swap_b32_e32 v110, v114                       // 00000000AAC8: 7EDCB372
	v_permlane16_swap_b32_e32 v111, v115                       // 00000000AACC: 7EDEB373
	ds_bpermute_b32 v44, v35, v108                             // 00000000AAD0: D87E0000 2C006C23
	ds_bpermute_b32 v45, v35, v109                             // 00000000AAD8: D87E0000 2D006D23
	ds_bpermute_b32 v46, v35, v110                             // 00000000AAE0: D87E0000 2E006E23
	ds_bpermute_b32 v47, v35, v111                             // 00000000AAE8: D87E0000 2F006F23
	ds_bpermute_b32 v48, v35, v112                             // 00000000AAF0: D87E0000 30007023
	ds_bpermute_b32 v49, v35, v113                             // 00000000AAF8: D87E0000 31007123
	ds_bpermute_b32 v50, v35, v114                             // 00000000AB00: D87E0000 32007223
	ds_bpermute_b32 v51, v35, v115                             // 00000000AB08: D87E0000 33007323
	v_permlane16_swap_b32_e32 v116, v120                       // 00000000AB10: 7EE8B378
	v_permlane16_swap_b32_e32 v117, v121                       // 00000000AB14: 7EEAB379
	v_permlane16_swap_b32_e32 v118, v122                       // 00000000AB18: 7EECB37A
	v_permlane16_swap_b32_e32 v119, v123                       // 00000000AB1C: 7EEEB37B
	ds_bpermute_b32 v52, v35, v116                             // 00000000AB20: D87E0000 34007423
	ds_bpermute_b32 v53, v35, v117                             // 00000000AB28: D87E0000 35007523
	ds_bpermute_b32 v54, v35, v118                             // 00000000AB30: D87E0000 36007623
	ds_bpermute_b32 v55, v35, v119                             // 00000000AB38: D87E0000 37007723
	ds_bpermute_b32 v56, v35, v120                             // 00000000AB40: D87E0000 38007823
	ds_bpermute_b32 v57, v35, v121                             // 00000000AB48: D87E0000 39007923
	ds_bpermute_b32 v58, v35, v122                             // 00000000AB50: D87E0000 3A007A23
	ds_bpermute_b32 v59, v35, v123                             // 00000000AB58: D87E0000 3B007B23
	s_waitcnt lgkmcnt(12)                                      // 00000000AB60: BF8CCC7F
	buffer_store_dwordx4 v[44:47], v219, s[8:11], 0 offen      // 00000000AB64: E07C1000 80022CDB
	s_waitcnt lgkmcnt(8)                                       // 00000000AB6C: BF8CC87F
	buffer_store_dwordx4 v[48:51], v220, s[8:11], 0 offen      // 00000000AB70: E07C1000 800230DC
	s_mov_b32 s56, 64                                          // 00000000AB78: BEB800C0
	v_add_u32_e32 v219, s56, v219                              // 00000000AB7C: 69B7B638
	v_add_u32_e32 v220, s56, v220                              // 00000000AB80: 69B9B838
	s_waitcnt lgkmcnt(4)                                       // 00000000AB84: BF8CC47F
	buffer_store_dwordx4 v[52:55], v219, s[8:11], 0 offen      // 00000000AB88: E07C1000 800234DB
	s_waitcnt lgkmcnt(0)                                       // 00000000AB90: BF8CC07F
	buffer_store_dwordx4 v[56:59], v220, s[8:11], 0 offen      // 00000000AB94: E07C1000 800238DC
	v_add_u32_e32 v219, s56, v219                              // 00000000AB9C: 69B7B638
	v_add_u32_e32 v220, s56, v220                              // 00000000ABA0: 69B9B838
	v_permlane16_swap_b32_e32 v124, v128                       // 00000000ABA4: 7EF8B380
	v_permlane16_swap_b32_e32 v125, v129                       // 00000000ABA8: 7EFAB381
	v_permlane16_swap_b32_e32 v126, v130                       // 00000000ABAC: 7EFCB382
	v_permlane16_swap_b32_e32 v127, v131                       // 00000000ABB0: 7EFEB383
	ds_bpermute_b32 v44, v35, v124                             // 00000000ABB4: D87E0000 2C007C23
	ds_bpermute_b32 v45, v35, v125                             // 00000000ABBC: D87E0000 2D007D23
	ds_bpermute_b32 v46, v35, v126                             // 00000000ABC4: D87E0000 2E007E23
	ds_bpermute_b32 v47, v35, v127                             // 00000000ABCC: D87E0000 2F007F23
	ds_bpermute_b32 v48, v35, v128                             // 00000000ABD4: D87E0000 30008023
	ds_bpermute_b32 v49, v35, v129                             // 00000000ABDC: D87E0000 31008123
	ds_bpermute_b32 v50, v35, v130                             // 00000000ABE4: D87E0000 32008223
	ds_bpermute_b32 v51, v35, v131                             // 00000000ABEC: D87E0000 33008323
	v_permlane16_swap_b32_e32 v132, v136                       // 00000000ABF4: 7F08B388
	v_permlane16_swap_b32_e32 v133, v137                       // 00000000ABF8: 7F0AB389
	v_permlane16_swap_b32_e32 v134, v138                       // 00000000ABFC: 7F0CB38A
	v_permlane16_swap_b32_e32 v135, v139                       // 00000000AC00: 7F0EB38B
	ds_bpermute_b32 v52, v35, v132                             // 00000000AC04: D87E0000 34008423
	ds_bpermute_b32 v53, v35, v133                             // 00000000AC0C: D87E0000 35008523
	ds_bpermute_b32 v54, v35, v134                             // 00000000AC14: D87E0000 36008623
	ds_bpermute_b32 v55, v35, v135                             // 00000000AC1C: D87E0000 37008723
	ds_bpermute_b32 v56, v35, v136                             // 00000000AC24: D87E0000 38008823
	ds_bpermute_b32 v57, v35, v137                             // 00000000AC2C: D87E0000 39008923
	ds_bpermute_b32 v58, v35, v138                             // 00000000AC34: D87E0000 3A008A23
	ds_bpermute_b32 v59, v35, v139                             // 00000000AC3C: D87E0000 3B008B23
	s_waitcnt lgkmcnt(12)                                      // 00000000AC44: BF8CCC7F
	buffer_store_dwordx4 v[44:47], v219, s[8:11], 0 offen      // 00000000AC48: E07C1000 80022CDB
	s_waitcnt lgkmcnt(8)                                       // 00000000AC50: BF8CC87F
	buffer_store_dwordx4 v[48:51], v220, s[8:11], 0 offen      // 00000000AC54: E07C1000 800230DC
	s_mov_b32 s56, 64                                          // 00000000AC5C: BEB800C0
	v_add_u32_e32 v219, s56, v219                              // 00000000AC60: 69B7B638
	v_add_u32_e32 v220, s56, v220                              // 00000000AC64: 69B9B838
	s_waitcnt lgkmcnt(4)                                       // 00000000AC68: BF8CC47F
	buffer_store_dwordx4 v[52:55], v219, s[8:11], 0 offen      // 00000000AC6C: E07C1000 800234DB
	s_waitcnt lgkmcnt(0)                                       // 00000000AC74: BF8CC07F
	buffer_store_dwordx4 v[56:59], v220, s[8:11], 0 offen      // 00000000AC78: E07C1000 800238DC
	v_add_u32_e32 v219, s56, v219                              // 00000000AC80: 69B7B638
	v_add_u32_e32 v220, s56, v220                              // 00000000AC84: 69B9B838
	v_permlane16_swap_b32_e32 v140, v144                       // 00000000AC88: 7F18B390
	v_permlane16_swap_b32_e32 v141, v145                       // 00000000AC8C: 7F1AB391
	v_permlane16_swap_b32_e32 v142, v146                       // 00000000AC90: 7F1CB392
	v_permlane16_swap_b32_e32 v143, v147                       // 00000000AC94: 7F1EB393
	ds_bpermute_b32 v44, v35, v140                             // 00000000AC98: D87E0000 2C008C23
	ds_bpermute_b32 v45, v35, v141                             // 00000000ACA0: D87E0000 2D008D23
	ds_bpermute_b32 v46, v35, v142                             // 00000000ACA8: D87E0000 2E008E23
	ds_bpermute_b32 v47, v35, v143                             // 00000000ACB0: D87E0000 2F008F23
	ds_bpermute_b32 v48, v35, v144                             // 00000000ACB8: D87E0000 30009023
	ds_bpermute_b32 v49, v35, v145                             // 00000000ACC0: D87E0000 31009123
	ds_bpermute_b32 v50, v35, v146                             // 00000000ACC8: D87E0000 32009223
	ds_bpermute_b32 v51, v35, v147                             // 00000000ACD0: D87E0000 33009323
	v_permlane16_swap_b32_e32 v148, v152                       // 00000000ACD8: 7F28B398
	v_permlane16_swap_b32_e32 v149, v153                       // 00000000ACDC: 7F2AB399
	v_permlane16_swap_b32_e32 v150, v154                       // 00000000ACE0: 7F2CB39A
	v_permlane16_swap_b32_e32 v151, v155                       // 00000000ACE4: 7F2EB39B
	ds_bpermute_b32 v52, v35, v148                             // 00000000ACE8: D87E0000 34009423
	ds_bpermute_b32 v53, v35, v149                             // 00000000ACF0: D87E0000 35009523
	ds_bpermute_b32 v54, v35, v150                             // 00000000ACF8: D87E0000 36009623
	ds_bpermute_b32 v55, v35, v151                             // 00000000AD00: D87E0000 37009723
	ds_bpermute_b32 v56, v35, v152                             // 00000000AD08: D87E0000 38009823
	ds_bpermute_b32 v57, v35, v153                             // 00000000AD10: D87E0000 39009923
	ds_bpermute_b32 v58, v35, v154                             // 00000000AD18: D87E0000 3A009A23
	ds_bpermute_b32 v59, v35, v155                             // 00000000AD20: D87E0000 3B009B23
	s_waitcnt lgkmcnt(12)                                      // 00000000AD28: BF8CCC7F
	buffer_store_dwordx4 v[44:47], v219, s[8:11], 0 offen      // 00000000AD2C: E07C1000 80022CDB
	s_waitcnt lgkmcnt(8)                                       // 00000000AD34: BF8CC87F
	buffer_store_dwordx4 v[48:51], v220, s[8:11], 0 offen      // 00000000AD38: E07C1000 800230DC
	s_mov_b32 s56, 64                                          // 00000000AD40: BEB800C0
	v_add_u32_e32 v219, s56, v219                              // 00000000AD44: 69B7B638
	v_add_u32_e32 v220, s56, v220                              // 00000000AD48: 69B9B838
	s_waitcnt lgkmcnt(4)                                       // 00000000AD4C: BF8CC47F
	buffer_store_dwordx4 v[52:55], v219, s[8:11], 0 offen      // 00000000AD50: E07C1000 800234DB
	s_waitcnt lgkmcnt(0)                                       // 00000000AD58: BF8CC07F
	buffer_store_dwordx4 v[56:59], v220, s[8:11], 0 offen      // 00000000AD5C: E07C1000 800238DC
	v_add_u32_e32 v219, s56, v219                              // 00000000AD64: 69B7B638
	v_add_u32_e32 v220, s56, v220                              // 00000000AD68: 69B9B838
	v_permlane16_swap_b32_e32 v156, v160                       // 00000000AD6C: 7F38B3A0
	v_permlane16_swap_b32_e32 v157, v161                       // 00000000AD70: 7F3AB3A1
	v_permlane16_swap_b32_e32 v158, v162                       // 00000000AD74: 7F3CB3A2
	v_permlane16_swap_b32_e32 v159, v163                       // 00000000AD78: 7F3EB3A3
	ds_bpermute_b32 v44, v35, v156                             // 00000000AD7C: D87E0000 2C009C23
	ds_bpermute_b32 v45, v35, v157                             // 00000000AD84: D87E0000 2D009D23
	ds_bpermute_b32 v46, v35, v158                             // 00000000AD8C: D87E0000 2E009E23
	ds_bpermute_b32 v47, v35, v159                             // 00000000AD94: D87E0000 2F009F23
	ds_bpermute_b32 v48, v35, v160                             // 00000000AD9C: D87E0000 3000A023
	ds_bpermute_b32 v49, v35, v161                             // 00000000ADA4: D87E0000 3100A123
	ds_bpermute_b32 v50, v35, v162                             // 00000000ADAC: D87E0000 3200A223
	ds_bpermute_b32 v51, v35, v163                             // 00000000ADB4: D87E0000 3300A323
	v_permlane16_swap_b32_e32 v164, v168                       // 00000000ADBC: 7F48B3A8
	v_permlane16_swap_b32_e32 v165, v169                       // 00000000ADC0: 7F4AB3A9
	v_permlane16_swap_b32_e32 v166, v170                       // 00000000ADC4: 7F4CB3AA
	v_permlane16_swap_b32_e32 v167, v171                       // 00000000ADC8: 7F4EB3AB
	ds_bpermute_b32 v52, v35, v164                             // 00000000ADCC: D87E0000 3400A423
	ds_bpermute_b32 v53, v35, v165                             // 00000000ADD4: D87E0000 3500A523
	ds_bpermute_b32 v54, v35, v166                             // 00000000ADDC: D87E0000 3600A623
	ds_bpermute_b32 v55, v35, v167                             // 00000000ADE4: D87E0000 3700A723
	ds_bpermute_b32 v56, v35, v168                             // 00000000ADEC: D87E0000 3800A823
	ds_bpermute_b32 v57, v35, v169                             // 00000000ADF4: D87E0000 3900A923
	ds_bpermute_b32 v58, v35, v170                             // 00000000ADFC: D87E0000 3A00AA23
	ds_bpermute_b32 v59, v35, v171                             // 00000000AE04: D87E0000 3B00AB23
	s_waitcnt lgkmcnt(12)                                      // 00000000AE0C: BF8CCC7F
	buffer_store_dwordx4 v[44:47], v219, s[8:11], 0 offen      // 00000000AE10: E07C1000 80022CDB
	s_waitcnt lgkmcnt(8)                                       // 00000000AE18: BF8CC87F
	buffer_store_dwordx4 v[48:51], v220, s[8:11], 0 offen      // 00000000AE1C: E07C1000 800230DC
	s_mov_b32 s56, 64                                          // 00000000AE24: BEB800C0
	v_add_u32_e32 v219, s56, v219                              // 00000000AE28: 69B7B638
	v_add_u32_e32 v220, s56, v220                              // 00000000AE2C: 69B9B838
	s_waitcnt lgkmcnt(4)                                       // 00000000AE30: BF8CC47F
	buffer_store_dwordx4 v[52:55], v219, s[8:11], 0 offen      // 00000000AE34: E07C1000 800234DB
	s_waitcnt lgkmcnt(0)                                       // 00000000AE3C: BF8CC07F
	buffer_store_dwordx4 v[56:59], v220, s[8:11], 0 offen      // 00000000AE40: E07C1000 800238DC
	v_add_u32_e32 v219, s56, v219                              // 00000000AE48: 69B7B638
	v_add_u32_e32 v220, s56, v220                              // 00000000AE4C: 69B9B838
	v_permlane16_swap_b32_e32 v172, v176                       // 00000000AE50: 7F58B3B0
	v_permlane16_swap_b32_e32 v173, v177                       // 00000000AE54: 7F5AB3B1
	v_permlane16_swap_b32_e32 v174, v178                       // 00000000AE58: 7F5CB3B2
	v_permlane16_swap_b32_e32 v175, v179                       // 00000000AE5C: 7F5EB3B3
	ds_bpermute_b32 v44, v35, v172                             // 00000000AE60: D87E0000 2C00AC23
	ds_bpermute_b32 v45, v35, v173                             // 00000000AE68: D87E0000 2D00AD23
	ds_bpermute_b32 v46, v35, v174                             // 00000000AE70: D87E0000 2E00AE23
	ds_bpermute_b32 v47, v35, v175                             // 00000000AE78: D87E0000 2F00AF23
	ds_bpermute_b32 v48, v35, v176                             // 00000000AE80: D87E0000 3000B023
	ds_bpermute_b32 v49, v35, v177                             // 00000000AE88: D87E0000 3100B123
	ds_bpermute_b32 v50, v35, v178                             // 00000000AE90: D87E0000 3200B223
	ds_bpermute_b32 v51, v35, v179                             // 00000000AE98: D87E0000 3300B323
	v_permlane16_swap_b32_e32 v180, v184                       // 00000000AEA0: 7F68B3B8
	v_permlane16_swap_b32_e32 v181, v185                       // 00000000AEA4: 7F6AB3B9
	v_permlane16_swap_b32_e32 v182, v186                       // 00000000AEA8: 7F6CB3BA
	v_permlane16_swap_b32_e32 v183, v187                       // 00000000AEAC: 7F6EB3BB
	ds_bpermute_b32 v52, v35, v180                             // 00000000AEB0: D87E0000 3400B423
	ds_bpermute_b32 v53, v35, v181                             // 00000000AEB8: D87E0000 3500B523
	ds_bpermute_b32 v54, v35, v182                             // 00000000AEC0: D87E0000 3600B623
	ds_bpermute_b32 v55, v35, v183                             // 00000000AEC8: D87E0000 3700B723
	ds_bpermute_b32 v56, v35, v184                             // 00000000AED0: D87E0000 3800B823
	ds_bpermute_b32 v57, v35, v185                             // 00000000AED8: D87E0000 3900B923
	ds_bpermute_b32 v58, v35, v186                             // 00000000AEE0: D87E0000 3A00BA23
	ds_bpermute_b32 v59, v35, v187                             // 00000000AEE8: D87E0000 3B00BB23
	s_waitcnt lgkmcnt(12)                                      // 00000000AEF0: BF8CCC7F
	buffer_store_dwordx4 v[44:47], v219, s[8:11], 0 offen      // 00000000AEF4: E07C1000 80022CDB
	s_waitcnt lgkmcnt(8)                                       // 00000000AEFC: BF8CC87F
	buffer_store_dwordx4 v[48:51], v220, s[8:11], 0 offen      // 00000000AF00: E07C1000 800230DC
	s_mov_b32 s56, 64                                          // 00000000AF08: BEB800C0
	v_add_u32_e32 v219, s56, v219                              // 00000000AF0C: 69B7B638
	v_add_u32_e32 v220, s56, v220                              // 00000000AF10: 69B9B838
	s_waitcnt lgkmcnt(4)                                       // 00000000AF14: BF8CC47F
	buffer_store_dwordx4 v[52:55], v219, s[8:11], 0 offen      // 00000000AF18: E07C1000 800234DB
	s_waitcnt lgkmcnt(0)                                       // 00000000AF20: BF8CC07F
	buffer_store_dwordx4 v[56:59], v220, s[8:11], 0 offen      // 00000000AF24: E07C1000 800238DC
	v_add_u32_e32 v219, s56, v219                              // 00000000AF2C: 69B7B638
	v_add_u32_e32 v220, s56, v220                              // 00000000AF30: 69B9B838
	v_permlane16_swap_b32_e32 v188, v192                       // 00000000AF34: 7F78B3C0
	v_permlane16_swap_b32_e32 v189, v193                       // 00000000AF38: 7F7AB3C1
	v_permlane16_swap_b32_e32 v190, v194                       // 00000000AF3C: 7F7CB3C2
	v_permlane16_swap_b32_e32 v191, v195                       // 00000000AF40: 7F7EB3C3
	ds_bpermute_b32 v44, v35, v188                             // 00000000AF44: D87E0000 2C00BC23
	ds_bpermute_b32 v45, v35, v189                             // 00000000AF4C: D87E0000 2D00BD23
	ds_bpermute_b32 v46, v35, v190                             // 00000000AF54: D87E0000 2E00BE23
	ds_bpermute_b32 v47, v35, v191                             // 00000000AF5C: D87E0000 2F00BF23
	ds_bpermute_b32 v48, v35, v192                             // 00000000AF64: D87E0000 3000C023
	ds_bpermute_b32 v49, v35, v193                             // 00000000AF6C: D87E0000 3100C123
	ds_bpermute_b32 v50, v35, v194                             // 00000000AF74: D87E0000 3200C223
	ds_bpermute_b32 v51, v35, v195                             // 00000000AF7C: D87E0000 3300C323
	v_permlane16_swap_b32_e32 v196, v200                       // 00000000AF84: 7F88B3C8
	v_permlane16_swap_b32_e32 v197, v201                       // 00000000AF88: 7F8AB3C9
	v_permlane16_swap_b32_e32 v198, v202                       // 00000000AF8C: 7F8CB3CA
	v_permlane16_swap_b32_e32 v199, v203                       // 00000000AF90: 7F8EB3CB
	ds_bpermute_b32 v52, v35, v196                             // 00000000AF94: D87E0000 3400C423
	ds_bpermute_b32 v53, v35, v197                             // 00000000AF9C: D87E0000 3500C523
	ds_bpermute_b32 v54, v35, v198                             // 00000000AFA4: D87E0000 3600C623
	ds_bpermute_b32 v55, v35, v199                             // 00000000AFAC: D87E0000 3700C723
	ds_bpermute_b32 v56, v35, v200                             // 00000000AFB4: D87E0000 3800C823
	ds_bpermute_b32 v57, v35, v201                             // 00000000AFBC: D87E0000 3900C923
	ds_bpermute_b32 v58, v35, v202                             // 00000000AFC4: D87E0000 3A00CA23
	ds_bpermute_b32 v59, v35, v203                             // 00000000AFCC: D87E0000 3B00CB23
	s_waitcnt lgkmcnt(12)                                      // 00000000AFD4: BF8CCC7F
	buffer_store_dwordx4 v[44:47], v219, s[8:11], 0 offen      // 00000000AFD8: E07C1000 80022CDB
	s_waitcnt lgkmcnt(8)                                       // 00000000AFE0: BF8CC87F
	buffer_store_dwordx4 v[48:51], v220, s[8:11], 0 offen      // 00000000AFE4: E07C1000 800230DC
	s_mov_b32 s56, 64                                          // 00000000AFEC: BEB800C0
	v_add_u32_e32 v219, s56, v219                              // 00000000AFF0: 69B7B638
	v_add_u32_e32 v220, s56, v220                              // 00000000AFF4: 69B9B838
	s_waitcnt lgkmcnt(4)                                       // 00000000AFF8: BF8CC47F
	buffer_store_dwordx4 v[52:55], v219, s[8:11], 0 offen      // 00000000AFFC: E07C1000 800234DB
	s_waitcnt lgkmcnt(0)                                       // 00000000B004: BF8CC07F
	buffer_store_dwordx4 v[56:59], v220, s[8:11], 0 offen      // 00000000B008: E07C1000 800238DC
	v_add_u32_e32 v219, s56, v219                              // 00000000B010: 69B7B638
	v_add_u32_e32 v220, s56, v220                              // 00000000B014: 69B9B838
	buffer_store_dword v218, v221, s[12:15], 0 offen           // 00000000B018: E0701000 8003DADD
	s_branch label_93FC                                        // 00000000B020: BF8201B6

000000000000b024 <label_8D24>:
	s_mul_i32 s75, 0x400, 8                                    // 00000000B024: 924B88FF 00000400
	s_mov_b32 s56, s79                                         // 00000000B02C: BEB8004F
	s_mul_i32 s56, s56, s75                                    // 00000000B030: 92384B38
	s_add_u32 s88, s56, s88                                    // 00000000B034: 80585838
	s_addc_u32 s89, 0, s89                                     // 00000000B038: 82595980
	s_mul_i32 s56, s75, s81                                    // 00000000B03C: 9238514B
	s_mov_b32 s90, s56                                         // 00000000B040: BEDA0038
	s_mov_b32 s57, 0x8000                                      // 00000000B044: BEB900FF 00008000
	s_lshr_b32 s56, s7, 1                                      // 00000000B04C: 8F388107
	s_mul_i32 s56, s56, s57                                    // 00000000B050: 92383938
	s_mov_b32 s58, 0x200                                       // 00000000B054: BEBA00FF 00000200
	s_and_b32 s57, 1, s7                                       // 00000000B05C: 86390781
	s_mul_i32 s57, s57, s58                                    // 00000000B060: 92393A39
	s_add_u32 s56, s56, s57                                    // 00000000B064: 80383938
	v_lshrrev_b32_e32 v219, 2, v0                              // 00000000B068: 21B60082
	s_mov_b32 s57, 0x400                                       // 00000000B06C: BEB900FF 00000400
	v_mul_i32_i24_e32 v219, s57, v219                          // 00000000B074: 0DB7B639
	v_and_b32_e32 v35, 3, v0                                   // 00000000B078: 26460083
	v_lshlrev_b32_e32 v35, 4, v35                              // 00000000B07C: 24464684
	v_add_u32_e32 v219, v35, v219                              // 00000000B080: 69B7B723
	v_add_u32_e32 v219, s56, v219                              // 00000000B084: 69B7B638
	s_mov_b32 s57, 0x4000                                      // 00000000B088: BEB900FF 00004000
	v_add_u32_e32 v220, s57, v219                              // 00000000B090: 69B9B639
	v_and_b32_e32 v35, 1, v0                                   // 00000000B094: 26460081
	v_lshlrev_b32_e32 v35, 5, v35                              // 00000000B098: 24464685
	v_and_b32_e32 v36, 3, v0                                   // 00000000B09C: 26480083
	v_lshrrev_b32_e32 v36, 1, v36                              // 00000000B0A0: 20484881
	v_lshlrev_b32_e32 v36, 4, v36                              // 00000000B0A4: 24484884
	v_add_u32_e32 v35, v35, v36                                // 00000000B0A8: 68464923
	v_lshrrev_b32_e32 v36, 2, v0                               // 00000000B0AC: 20480082
	v_add_u32_e32 v35, v35, v36                                // 00000000B0B0: 68464923
	v_lshlrev_b32_e32 v35, 2, v35                              // 00000000B0B4: 24464682
	v_lshlrev_b32_e32 v37, 4, v0                               // 00000000B0B8: 244A0084
	v_cvt_pk_bf16_f32 v76, v76, v77                            // 00000000B0BC: D268004C 00029B4C
	v_cvt_pk_bf16_f32 v77, v78, v79                            // 00000000B0C4: D268004D 00029F4E
	v_cvt_pk_bf16_f32 v78, v80, v81                            // 00000000B0CC: D268004E 0002A350
	v_cvt_pk_bf16_f32 v79, v82, v83                            // 00000000B0D4: D268004F 0002A752
	v_cvt_pk_bf16_f32 v80, v84, v85                            // 00000000B0DC: D2680050 0002AB54
	v_cvt_pk_bf16_f32 v81, v86, v87                            // 00000000B0E4: D2680051 0002AF56
	v_cvt_pk_bf16_f32 v82, v88, v89                            // 00000000B0EC: D2680052 0002B358
	v_cvt_pk_bf16_f32 v83, v90, v91                            // 00000000B0F4: D2680053 0002B75A
	v_permlane32_swap_b32_e32 v76, v78                         // 00000000B0FC: 7E98B54E
	v_permlane32_swap_b32_e32 v77, v79                         // 00000000B100: 7E9AB54F
	v_permlane32_swap_b32_e32 v80, v82                         // 00000000B104: 7EA0B552
	v_permlane32_swap_b32_e32 v81, v83                         // 00000000B108: 7EA2B553
	s_nop 1                                                    // 00000000B10C: BF800001
	v_permlane16_swap_b32_e32 v76, v80                         // 00000000B110: 7E98B350
	v_permlane16_swap_b32_e32 v77, v81                         // 00000000B114: 7E9AB351
	v_permlane16_swap_b32_e32 v78, v82                         // 00000000B118: 7E9CB352
	v_permlane16_swap_b32_e32 v79, v83                         // 00000000B11C: 7E9EB353
	ds_bpermute_b32 v44, v35, v76                              // 00000000B120: D87E0000 2C004C23
	ds_bpermute_b32 v45, v35, v77                              // 00000000B128: D87E0000 2D004D23
	ds_bpermute_b32 v46, v35, v78                              // 00000000B130: D87E0000 2E004E23
	ds_bpermute_b32 v47, v35, v79                              // 00000000B138: D87E0000 2F004F23
	ds_bpermute_b32 v48, v35, v80                              // 00000000B140: D87E0000 30005023
	ds_bpermute_b32 v49, v35, v81                              // 00000000B148: D87E0000 31005123
	ds_bpermute_b32 v50, v35, v82                              // 00000000B150: D87E0000 32005223
	ds_bpermute_b32 v51, v35, v83                              // 00000000B158: D87E0000 33005323
	s_waitcnt lgkmcnt(4)                                       // 00000000B160: BF8CC47F
	buffer_store_dwordx4 v[44:47], v219, s[88:91], 0 offen     // 00000000B164: E07C1000 80162CDB
	s_mov_b32 s56, 64                                          // 00000000B16C: BEB800C0
	v_add_u32_e32 v219, s56, v219                              // 00000000B170: 69B7B638
	s_waitcnt lgkmcnt(0)                                       // 00000000B174: BF8CC07F
	buffer_store_dwordx4 v[48:51], v220, s[88:91], 0 offen     // 00000000B178: E07C1000 801630DC
	v_add_u32_e32 v220, s56, v220                              // 00000000B180: 69B9B838
	v_cvt_pk_bf16_f32 v76, v92, v93                            // 00000000B184: D268004C 0002BB5C
	v_cvt_pk_bf16_f32 v77, v94, v95                            // 00000000B18C: D268004D 0002BF5E
	v_cvt_pk_bf16_f32 v78, v96, v97                            // 00000000B194: D268004E 0002C360
	v_cvt_pk_bf16_f32 v79, v98, v99                            // 00000000B19C: D268004F 0002C762
	v_cvt_pk_bf16_f32 v80, v100, v101                          // 00000000B1A4: D2680050 0002CB64
	v_cvt_pk_bf16_f32 v81, v102, v103                          // 00000000B1AC: D2680051 0002CF66
	v_cvt_pk_bf16_f32 v82, v104, v105                          // 00000000B1B4: D2680052 0002D368
	v_cvt_pk_bf16_f32 v83, v106, v107                          // 00000000B1BC: D2680053 0002D76A
	v_permlane32_swap_b32_e32 v76, v78                         // 00000000B1C4: 7E98B54E
	v_permlane32_swap_b32_e32 v77, v79                         // 00000000B1C8: 7E9AB54F
	v_permlane32_swap_b32_e32 v80, v82                         // 00000000B1CC: 7EA0B552
	v_permlane32_swap_b32_e32 v81, v83                         // 00000000B1D0: 7EA2B553
	s_nop 1                                                    // 00000000B1D4: BF800001
	v_permlane16_swap_b32_e32 v76, v80                         // 00000000B1D8: 7E98B350
	v_permlane16_swap_b32_e32 v77, v81                         // 00000000B1DC: 7E9AB351
	v_permlane16_swap_b32_e32 v78, v82                         // 00000000B1E0: 7E9CB352
	v_permlane16_swap_b32_e32 v79, v83                         // 00000000B1E4: 7E9EB353
	ds_bpermute_b32 v44, v35, v76                              // 00000000B1E8: D87E0000 2C004C23
	ds_bpermute_b32 v45, v35, v77                              // 00000000B1F0: D87E0000 2D004D23
	ds_bpermute_b32 v46, v35, v78                              // 00000000B1F8: D87E0000 2E004E23
	ds_bpermute_b32 v47, v35, v79                              // 00000000B200: D87E0000 2F004F23
	ds_bpermute_b32 v48, v35, v80                              // 00000000B208: D87E0000 30005023
	ds_bpermute_b32 v49, v35, v81                              // 00000000B210: D87E0000 31005123
	ds_bpermute_b32 v50, v35, v82                              // 00000000B218: D87E0000 32005223
	ds_bpermute_b32 v51, v35, v83                              // 00000000B220: D87E0000 33005323
	s_waitcnt lgkmcnt(4)                                       // 00000000B228: BF8CC47F
	buffer_store_dwordx4 v[44:47], v219, s[88:91], 0 offen     // 00000000B22C: E07C1000 80162CDB
	s_mov_b32 s56, 64                                          // 00000000B234: BEB800C0
	v_add_u32_e32 v219, s56, v219                              // 00000000B238: 69B7B638
	s_waitcnt lgkmcnt(0)                                       // 00000000B23C: BF8CC07F
	buffer_store_dwordx4 v[48:51], v220, s[88:91], 0 offen     // 00000000B240: E07C1000 801630DC
	v_add_u32_e32 v220, s56, v220                              // 00000000B248: 69B9B838
	v_cvt_pk_bf16_f32 v76, v108, v109                          // 00000000B24C: D268004C 0002DB6C
	v_cvt_pk_bf16_f32 v77, v110, v111                          // 00000000B254: D268004D 0002DF6E
	v_cvt_pk_bf16_f32 v78, v112, v113                          // 00000000B25C: D268004E 0002E370
	v_cvt_pk_bf16_f32 v79, v114, v115                          // 00000000B264: D268004F 0002E772
	v_cvt_pk_bf16_f32 v80, v116, v117                          // 00000000B26C: D2680050 0002EB74
	v_cvt_pk_bf16_f32 v81, v118, v119                          // 00000000B274: D2680051 0002EF76
	v_cvt_pk_bf16_f32 v82, v120, v121                          // 00000000B27C: D2680052 0002F378
	v_cvt_pk_bf16_f32 v83, v122, v123                          // 00000000B284: D2680053 0002F77A
	v_permlane32_swap_b32_e32 v76, v78                         // 00000000B28C: 7E98B54E
	v_permlane32_swap_b32_e32 v77, v79                         // 00000000B290: 7E9AB54F
	v_permlane32_swap_b32_e32 v80, v82                         // 00000000B294: 7EA0B552
	v_permlane32_swap_b32_e32 v81, v83                         // 00000000B298: 7EA2B553
	s_nop 1                                                    // 00000000B29C: BF800001
	v_permlane16_swap_b32_e32 v76, v80                         // 00000000B2A0: 7E98B350
	v_permlane16_swap_b32_e32 v77, v81                         // 00000000B2A4: 7E9AB351
	v_permlane16_swap_b32_e32 v78, v82                         // 00000000B2A8: 7E9CB352
	v_permlane16_swap_b32_e32 v79, v83                         // 00000000B2AC: 7E9EB353
	ds_bpermute_b32 v44, v35, v76                              // 00000000B2B0: D87E0000 2C004C23
	ds_bpermute_b32 v45, v35, v77                              // 00000000B2B8: D87E0000 2D004D23
	ds_bpermute_b32 v46, v35, v78                              // 00000000B2C0: D87E0000 2E004E23
	ds_bpermute_b32 v47, v35, v79                              // 00000000B2C8: D87E0000 2F004F23
	ds_bpermute_b32 v48, v35, v80                              // 00000000B2D0: D87E0000 30005023
	ds_bpermute_b32 v49, v35, v81                              // 00000000B2D8: D87E0000 31005123
	ds_bpermute_b32 v50, v35, v82                              // 00000000B2E0: D87E0000 32005223
	ds_bpermute_b32 v51, v35, v83                              // 00000000B2E8: D87E0000 33005323
	s_waitcnt lgkmcnt(4)                                       // 00000000B2F0: BF8CC47F
	buffer_store_dwordx4 v[44:47], v219, s[88:91], 0 offen     // 00000000B2F4: E07C1000 80162CDB
	s_mov_b32 s56, 64                                          // 00000000B2FC: BEB800C0
	v_add_u32_e32 v219, s56, v219                              // 00000000B300: 69B7B638
	s_waitcnt lgkmcnt(0)                                       // 00000000B304: BF8CC07F
	buffer_store_dwordx4 v[48:51], v220, s[88:91], 0 offen     // 00000000B308: E07C1000 801630DC
	v_add_u32_e32 v220, s56, v220                              // 00000000B310: 69B9B838
	v_cvt_pk_bf16_f32 v76, v124, v125                          // 00000000B314: D268004C 0002FB7C
	v_cvt_pk_bf16_f32 v77, v126, v127                          // 00000000B31C: D268004D 0002FF7E
	v_cvt_pk_bf16_f32 v78, v128, v129                          // 00000000B324: D268004E 00030380
	v_cvt_pk_bf16_f32 v79, v130, v131                          // 00000000B32C: D268004F 00030782
	v_cvt_pk_bf16_f32 v80, v132, v133                          // 00000000B334: D2680050 00030B84
	v_cvt_pk_bf16_f32 v81, v134, v135                          // 00000000B33C: D2680051 00030F86
	v_cvt_pk_bf16_f32 v82, v136, v137                          // 00000000B344: D2680052 00031388
	v_cvt_pk_bf16_f32 v83, v138, v139                          // 00000000B34C: D2680053 0003178A
	v_permlane32_swap_b32_e32 v76, v78                         // 00000000B354: 7E98B54E
	v_permlane32_swap_b32_e32 v77, v79                         // 00000000B358: 7E9AB54F
	v_permlane32_swap_b32_e32 v80, v82                         // 00000000B35C: 7EA0B552
	v_permlane32_swap_b32_e32 v81, v83                         // 00000000B360: 7EA2B553
	s_nop 1                                                    // 00000000B364: BF800001
	v_permlane16_swap_b32_e32 v76, v80                         // 00000000B368: 7E98B350
	v_permlane16_swap_b32_e32 v77, v81                         // 00000000B36C: 7E9AB351
	v_permlane16_swap_b32_e32 v78, v82                         // 00000000B370: 7E9CB352
	v_permlane16_swap_b32_e32 v79, v83                         // 00000000B374: 7E9EB353
	ds_bpermute_b32 v44, v35, v76                              // 00000000B378: D87E0000 2C004C23
	ds_bpermute_b32 v45, v35, v77                              // 00000000B380: D87E0000 2D004D23
	ds_bpermute_b32 v46, v35, v78                              // 00000000B388: D87E0000 2E004E23
	ds_bpermute_b32 v47, v35, v79                              // 00000000B390: D87E0000 2F004F23
	ds_bpermute_b32 v48, v35, v80                              // 00000000B398: D87E0000 30005023
	ds_bpermute_b32 v49, v35, v81                              // 00000000B3A0: D87E0000 31005123
	ds_bpermute_b32 v50, v35, v82                              // 00000000B3A8: D87E0000 32005223
	ds_bpermute_b32 v51, v35, v83                              // 00000000B3B0: D87E0000 33005323
	s_waitcnt lgkmcnt(4)                                       // 00000000B3B8: BF8CC47F
	buffer_store_dwordx4 v[44:47], v219, s[88:91], 0 offen     // 00000000B3BC: E07C1000 80162CDB
	s_mov_b32 s56, 64                                          // 00000000B3C4: BEB800C0
	v_add_u32_e32 v219, s56, v219                              // 00000000B3C8: 69B7B638
	s_waitcnt lgkmcnt(0)                                       // 00000000B3CC: BF8CC07F
	buffer_store_dwordx4 v[48:51], v220, s[88:91], 0 offen     // 00000000B3D0: E07C1000 801630DC
	v_add_u32_e32 v220, s56, v220                              // 00000000B3D8: 69B9B838
	v_cvt_pk_bf16_f32 v76, v140, v141                          // 00000000B3DC: D268004C 00031B8C
	v_cvt_pk_bf16_f32 v77, v142, v143                          // 00000000B3E4: D268004D 00031F8E
	v_cvt_pk_bf16_f32 v78, v144, v145                          // 00000000B3EC: D268004E 00032390
	v_cvt_pk_bf16_f32 v79, v146, v147                          // 00000000B3F4: D268004F 00032792
	v_cvt_pk_bf16_f32 v80, v148, v149                          // 00000000B3FC: D2680050 00032B94
	v_cvt_pk_bf16_f32 v81, v150, v151                          // 00000000B404: D2680051 00032F96
	v_cvt_pk_bf16_f32 v82, v152, v153                          // 00000000B40C: D2680052 00033398
	v_cvt_pk_bf16_f32 v83, v154, v155                          // 00000000B414: D2680053 0003379A
	v_permlane32_swap_b32_e32 v76, v78                         // 00000000B41C: 7E98B54E
	v_permlane32_swap_b32_e32 v77, v79                         // 00000000B420: 7E9AB54F
	v_permlane32_swap_b32_e32 v80, v82                         // 00000000B424: 7EA0B552
	v_permlane32_swap_b32_e32 v81, v83                         // 00000000B428: 7EA2B553
	s_nop 1                                                    // 00000000B42C: BF800001
	v_permlane16_swap_b32_e32 v76, v80                         // 00000000B430: 7E98B350
	v_permlane16_swap_b32_e32 v77, v81                         // 00000000B434: 7E9AB351
	v_permlane16_swap_b32_e32 v78, v82                         // 00000000B438: 7E9CB352
	v_permlane16_swap_b32_e32 v79, v83                         // 00000000B43C: 7E9EB353
	ds_bpermute_b32 v44, v35, v76                              // 00000000B440: D87E0000 2C004C23
	ds_bpermute_b32 v45, v35, v77                              // 00000000B448: D87E0000 2D004D23
	ds_bpermute_b32 v46, v35, v78                              // 00000000B450: D87E0000 2E004E23
	ds_bpermute_b32 v47, v35, v79                              // 00000000B458: D87E0000 2F004F23
	ds_bpermute_b32 v48, v35, v80                              // 00000000B460: D87E0000 30005023
	ds_bpermute_b32 v49, v35, v81                              // 00000000B468: D87E0000 31005123
	ds_bpermute_b32 v50, v35, v82                              // 00000000B470: D87E0000 32005223
	ds_bpermute_b32 v51, v35, v83                              // 00000000B478: D87E0000 33005323
	s_waitcnt lgkmcnt(4)                                       // 00000000B480: BF8CC47F
	buffer_store_dwordx4 v[44:47], v219, s[88:91], 0 offen     // 00000000B484: E07C1000 80162CDB
	s_mov_b32 s56, 64                                          // 00000000B48C: BEB800C0
	v_add_u32_e32 v219, s56, v219                              // 00000000B490: 69B7B638
	s_waitcnt lgkmcnt(0)                                       // 00000000B494: BF8CC07F
	buffer_store_dwordx4 v[48:51], v220, s[88:91], 0 offen     // 00000000B498: E07C1000 801630DC
	v_add_u32_e32 v220, s56, v220                              // 00000000B4A0: 69B9B838
	v_cvt_pk_bf16_f32 v76, v156, v157                          // 00000000B4A4: D268004C 00033B9C
	v_cvt_pk_bf16_f32 v77, v158, v159                          // 00000000B4AC: D268004D 00033F9E
	v_cvt_pk_bf16_f32 v78, v160, v161                          // 00000000B4B4: D268004E 000343A0
	v_cvt_pk_bf16_f32 v79, v162, v163                          // 00000000B4BC: D268004F 000347A2
	v_cvt_pk_bf16_f32 v80, v164, v165                          // 00000000B4C4: D2680050 00034BA4
	v_cvt_pk_bf16_f32 v81, v166, v167                          // 00000000B4CC: D2680051 00034FA6
	v_cvt_pk_bf16_f32 v82, v168, v169                          // 00000000B4D4: D2680052 000353A8
	v_cvt_pk_bf16_f32 v83, v170, v171                          // 00000000B4DC: D2680053 000357AA
	v_permlane32_swap_b32_e32 v76, v78                         // 00000000B4E4: 7E98B54E
	v_permlane32_swap_b32_e32 v77, v79                         // 00000000B4E8: 7E9AB54F
	v_permlane32_swap_b32_e32 v80, v82                         // 00000000B4EC: 7EA0B552
	v_permlane32_swap_b32_e32 v81, v83                         // 00000000B4F0: 7EA2B553
	s_nop 1                                                    // 00000000B4F4: BF800001
	v_permlane16_swap_b32_e32 v76, v80                         // 00000000B4F8: 7E98B350
	v_permlane16_swap_b32_e32 v77, v81                         // 00000000B4FC: 7E9AB351
	v_permlane16_swap_b32_e32 v78, v82                         // 00000000B500: 7E9CB352
	v_permlane16_swap_b32_e32 v79, v83                         // 00000000B504: 7E9EB353
	ds_bpermute_b32 v44, v35, v76                              // 00000000B508: D87E0000 2C004C23
	ds_bpermute_b32 v45, v35, v77                              // 00000000B510: D87E0000 2D004D23
	ds_bpermute_b32 v46, v35, v78                              // 00000000B518: D87E0000 2E004E23
	ds_bpermute_b32 v47, v35, v79                              // 00000000B520: D87E0000 2F004F23
	ds_bpermute_b32 v48, v35, v80                              // 00000000B528: D87E0000 30005023
	ds_bpermute_b32 v49, v35, v81                              // 00000000B530: D87E0000 31005123
	ds_bpermute_b32 v50, v35, v82                              // 00000000B538: D87E0000 32005223
	ds_bpermute_b32 v51, v35, v83                              // 00000000B540: D87E0000 33005323
	s_waitcnt lgkmcnt(4)                                       // 00000000B548: BF8CC47F
	buffer_store_dwordx4 v[44:47], v219, s[88:91], 0 offen     // 00000000B54C: E07C1000 80162CDB
	s_mov_b32 s56, 64                                          // 00000000B554: BEB800C0
	v_add_u32_e32 v219, s56, v219                              // 00000000B558: 69B7B638
	s_waitcnt lgkmcnt(0)                                       // 00000000B55C: BF8CC07F
	buffer_store_dwordx4 v[48:51], v220, s[88:91], 0 offen     // 00000000B560: E07C1000 801630DC
	v_add_u32_e32 v220, s56, v220                              // 00000000B568: 69B9B838
	v_cvt_pk_bf16_f32 v76, v172, v173                          // 00000000B56C: D268004C 00035BAC
	v_cvt_pk_bf16_f32 v77, v174, v175                          // 00000000B574: D268004D 00035FAE
	v_cvt_pk_bf16_f32 v78, v176, v177                          // 00000000B57C: D268004E 000363B0
	v_cvt_pk_bf16_f32 v79, v178, v179                          // 00000000B584: D268004F 000367B2
	v_cvt_pk_bf16_f32 v80, v180, v181                          // 00000000B58C: D2680050 00036BB4
	v_cvt_pk_bf16_f32 v81, v182, v183                          // 00000000B594: D2680051 00036FB6
	v_cvt_pk_bf16_f32 v82, v184, v185                          // 00000000B59C: D2680052 000373B8
	v_cvt_pk_bf16_f32 v83, v186, v187                          // 00000000B5A4: D2680053 000377BA
	v_permlane32_swap_b32_e32 v76, v78                         // 00000000B5AC: 7E98B54E
	v_permlane32_swap_b32_e32 v77, v79                         // 00000000B5B0: 7E9AB54F
	v_permlane32_swap_b32_e32 v80, v82                         // 00000000B5B4: 7EA0B552
	v_permlane32_swap_b32_e32 v81, v83                         // 00000000B5B8: 7EA2B553
	s_nop 1                                                    // 00000000B5BC: BF800001
	v_permlane16_swap_b32_e32 v76, v80                         // 00000000B5C0: 7E98B350
	v_permlane16_swap_b32_e32 v77, v81                         // 00000000B5C4: 7E9AB351
	v_permlane16_swap_b32_e32 v78, v82                         // 00000000B5C8: 7E9CB352
	v_permlane16_swap_b32_e32 v79, v83                         // 00000000B5CC: 7E9EB353
	ds_bpermute_b32 v44, v35, v76                              // 00000000B5D0: D87E0000 2C004C23
	ds_bpermute_b32 v45, v35, v77                              // 00000000B5D8: D87E0000 2D004D23
	ds_bpermute_b32 v46, v35, v78                              // 00000000B5E0: D87E0000 2E004E23
	ds_bpermute_b32 v47, v35, v79                              // 00000000B5E8: D87E0000 2F004F23
	ds_bpermute_b32 v48, v35, v80                              // 00000000B5F0: D87E0000 30005023
	ds_bpermute_b32 v49, v35, v81                              // 00000000B5F8: D87E0000 31005123
	ds_bpermute_b32 v50, v35, v82                              // 00000000B600: D87E0000 32005223
	ds_bpermute_b32 v51, v35, v83                              // 00000000B608: D87E0000 33005323
	s_waitcnt lgkmcnt(4)                                       // 00000000B610: BF8CC47F
	buffer_store_dwordx4 v[44:47], v219, s[88:91], 0 offen     // 00000000B614: E07C1000 80162CDB
	s_mov_b32 s56, 64                                          // 00000000B61C: BEB800C0
	v_add_u32_e32 v219, s56, v219                              // 00000000B620: 69B7B638
	s_waitcnt lgkmcnt(0)                                       // 00000000B624: BF8CC07F
	buffer_store_dwordx4 v[48:51], v220, s[88:91], 0 offen     // 00000000B628: E07C1000 801630DC
	v_add_u32_e32 v220, s56, v220                              // 00000000B630: 69B9B838
	v_cvt_pk_bf16_f32 v76, v188, v189                          // 00000000B634: D268004C 00037BBC
	v_cvt_pk_bf16_f32 v77, v190, v191                          // 00000000B63C: D268004D 00037FBE
	v_cvt_pk_bf16_f32 v78, v192, v193                          // 00000000B644: D268004E 000383C0
	v_cvt_pk_bf16_f32 v79, v194, v195                          // 00000000B64C: D268004F 000387C2
	v_cvt_pk_bf16_f32 v80, v196, v197                          // 00000000B654: D2680050 00038BC4
	v_cvt_pk_bf16_f32 v81, v198, v199                          // 00000000B65C: D2680051 00038FC6
	v_cvt_pk_bf16_f32 v82, v200, v201                          // 00000000B664: D2680052 000393C8
	v_cvt_pk_bf16_f32 v83, v202, v203                          // 00000000B66C: D2680053 000397CA
	v_permlane32_swap_b32_e32 v76, v78                         // 00000000B674: 7E98B54E
	v_permlane32_swap_b32_e32 v77, v79                         // 00000000B678: 7E9AB54F
	v_permlane32_swap_b32_e32 v80, v82                         // 00000000B67C: 7EA0B552
	v_permlane32_swap_b32_e32 v81, v83                         // 00000000B680: 7EA2B553
	s_nop 1                                                    // 00000000B684: BF800001
	v_permlane16_swap_b32_e32 v76, v80                         // 00000000B688: 7E98B350
	v_permlane16_swap_b32_e32 v77, v81                         // 00000000B68C: 7E9AB351
	v_permlane16_swap_b32_e32 v78, v82                         // 00000000B690: 7E9CB352
	v_permlane16_swap_b32_e32 v79, v83                         // 00000000B694: 7E9EB353
	ds_bpermute_b32 v44, v35, v76                              // 00000000B698: D87E0000 2C004C23
	ds_bpermute_b32 v45, v35, v77                              // 00000000B6A0: D87E0000 2D004D23
	ds_bpermute_b32 v46, v35, v78                              // 00000000B6A8: D87E0000 2E004E23
	ds_bpermute_b32 v47, v35, v79                              // 00000000B6B0: D87E0000 2F004F23
	ds_bpermute_b32 v48, v35, v80                              // 00000000B6B8: D87E0000 30005023
	ds_bpermute_b32 v49, v35, v81                              // 00000000B6C0: D87E0000 31005123
	ds_bpermute_b32 v50, v35, v82                              // 00000000B6C8: D87E0000 32005223
	ds_bpermute_b32 v51, v35, v83                              // 00000000B6D0: D87E0000 33005323
	s_waitcnt lgkmcnt(4)                                       // 00000000B6D8: BF8CC47F
	buffer_store_dwordx4 v[44:47], v219, s[88:91], 0 offen     // 00000000B6DC: E07C1000 80162CDB
	s_mov_b32 s56, 64                                          // 00000000B6E4: BEB800C0
	v_add_u32_e32 v219, s56, v219                              // 00000000B6E8: 69B7B638
	s_waitcnt lgkmcnt(0)                                       // 00000000B6EC: BF8CC07F
	buffer_store_dwordx4 v[48:51], v220, s[88:91], 0 offen     // 00000000B6F0: E07C1000 801630DC
	v_add_u32_e32 v220, s56, v220                              // 00000000B6F8: 69B9B838

000000000000b6fc <label_93FC>:
	s_mov_b32 s56, 32                                          // 00000000B6FC: BEB800A0
	s_addk_i32 s85, 0x1                                        // 00000000B700: B7550001
	s_cmp_lt_i32 s85, s86                                      // 00000000B704: BF045655
	s_cbranch_scc1 label_00A4                                  // 00000000B708: BF85DB26

000000000000b70c <label_940C>:
	s_waitcnt vmcnt(0) expcnt(0) lgkmcnt(0)                    // 00000000B70C: BF8C0000
	s_endpgm                                                   // 00000000B710: BF810000
